;; amdgpu-corpus repo=ROCm/rocFFT kind=compiled arch=gfx1201 opt=O3
	.text
	.amdgcn_target "amdgcn-amd-amdhsa--gfx1201"
	.amdhsa_code_object_version 6
	.protected	bluestein_single_fwd_len338_dim1_dp_op_CI_CI ; -- Begin function bluestein_single_fwd_len338_dim1_dp_op_CI_CI
	.globl	bluestein_single_fwd_len338_dim1_dp_op_CI_CI
	.p2align	8
	.type	bluestein_single_fwd_len338_dim1_dp_op_CI_CI,@function
bluestein_single_fwd_len338_dim1_dp_op_CI_CI: ; @bluestein_single_fwd_len338_dim1_dp_op_CI_CI
; %bb.0:
	s_load_b128 s[16:19], s[0:1], 0x28
	v_mul_u32_u24_e32 v1, 0x9d9, v0
	v_mov_b32_e32 v7, 0
	s_mov_b32 s2, exec_lo
	s_delay_alu instid0(VALU_DEP_2) | instskip(NEXT) | instid1(VALU_DEP_1)
	v_lshrrev_b32_e32 v1, 16, v1
	v_lshl_add_u32 v6, ttmp9, 1, v1
	s_wait_kmcnt 0x0
	s_delay_alu instid0(VALU_DEP_1)
	v_cmpx_gt_u64_e64 s[16:17], v[6:7]
	s_cbranch_execz .LBB0_10
; %bb.1:
	s_clause 0x1
	s_load_b128 s[4:7], s[0:1], 0x18
	s_load_b128 s[8:11], s[0:1], 0x0
	v_mul_lo_u16 v2, v1, 26
	s_mov_b32 s28, 0x42a4c3d2
	s_mov_b32 s26, 0x66966769
	;; [unrolled: 1-line block ×4, first 2 shown]
	v_sub_nc_u16 v88, v0, v2
	s_mov_b32 s16, 0x4bc48dbf
	s_mov_b32 s35, 0xbfddbe06
	;; [unrolled: 1-line block ×12, first 2 shown]
	s_wait_kmcnt 0x0
	s_load_b128 s[12:15], s[4:5], 0x0
	s_mov_b32 s39, 0x3fe5384d
	s_mov_b32 s38, s22
	;; [unrolled: 1-line block ×6, first 2 shown]
	s_wait_kmcnt 0x0
	v_mad_co_u64_u32 v[2:3], null, s14, v6, 0
	v_and_b32_e32 v183, 0xffff, v88
	s_mul_u64 s[2:3], s[12:13], 0x1a0
	s_delay_alu instid0(VALU_DEP_2) | instskip(NEXT) | instid1(VALU_DEP_2)
	v_mov_b32_e32 v0, v3
	v_mad_co_u64_u32 v[4:5], null, s12, v183, 0
	v_lshlrev_b32_e32 v255, 4, v183
	s_delay_alu instid0(VALU_DEP_2)
	v_mov_b32_e32 v3, v5
	v_mov_b32_e32 v5, v6
	scratch_store_b64 off, v[5:6], off offset:4 ; 8-byte Folded Spill
	v_mad_co_u64_u32 v[5:6], null, s15, v6, v[0:1]
	v_mad_co_u64_u32 v[6:7], null, s13, v183, v[3:4]
	s_mov_b32 s14, 0xb2365da1
	s_mov_b32 s12, 0xd0032e0c
	;; [unrolled: 1-line block ×4, first 2 shown]
	s_delay_alu instid0(VALU_DEP_2) | instskip(NEXT) | instid1(VALU_DEP_2)
	v_mov_b32_e32 v3, v5
	v_mov_b32_e32 v5, v6
	s_delay_alu instid0(VALU_DEP_2) | instskip(NEXT) | instid1(VALU_DEP_2)
	v_lshlrev_b64_e32 v[2:3], 4, v[2:3]
	v_lshlrev_b64_e32 v[4:5], 4, v[4:5]
	s_delay_alu instid0(VALU_DEP_2) | instskip(NEXT) | instid1(VALU_DEP_3)
	v_add_co_u32 v0, vcc_lo, s18, v2
	v_add_co_ci_u32_e32 v3, vcc_lo, s19, v3, vcc_lo
	s_mov_b32 s18, 0xebaa3ed8
	s_delay_alu instid0(VALU_DEP_2) | instskip(SKIP_1) | instid1(VALU_DEP_2)
	v_add_co_u32 v2, vcc_lo, v0, v4
	s_wait_alu 0xfffd
	v_add_co_ci_u32_e32 v3, vcc_lo, v3, v5, vcc_lo
	v_and_b32_e32 v0, 1, v1
	s_delay_alu instid0(VALU_DEP_3) | instskip(SKIP_1) | instid1(VALU_DEP_3)
	v_add_co_u32 v8, vcc_lo, v2, s2
	s_wait_alu 0xfffd
	v_add_co_ci_u32_e32 v9, vcc_lo, s3, v3, vcc_lo
	global_load_b128 v[12:15], v[2:3], off
	s_clause 0x1
	global_load_b128 v[32:35], v255, s[8:9]
	global_load_b128 v[4:7], v255, s[8:9] offset:416
	global_load_b128 v[16:19], v[8:9], off
	v_add_co_u32 v2, vcc_lo, v8, s2
	s_wait_alu 0xfffd
	v_add_co_ci_u32_e32 v3, vcc_lo, s3, v9, vcc_lo
	global_load_b128 v[20:23], v[2:3], off
	global_load_b128 v[8:11], v255, s[8:9] offset:832
	v_add_co_u32 v2, vcc_lo, v2, s2
	s_wait_alu 0xfffd
	v_add_co_ci_u32_e32 v3, vcc_lo, s3, v3, vcc_lo
	s_mov_b32 s19, 0x3fbedb7d
	s_wait_loadcnt 0x4
	v_mul_f64_e32 v[24:25], v[14:15], v[34:35]
	v_mul_f64_e32 v[26:27], v[12:13], v[34:35]
	s_wait_loadcnt 0x2
	v_mul_f64_e32 v[28:29], v[18:19], v[6:7]
	v_mul_f64_e32 v[30:31], v[16:17], v[6:7]
	s_clause 0x1
	scratch_store_b128 off, v[32:35], off offset:28
	scratch_store_b128 off, v[4:7], off offset:12
	v_fma_f64 v[52:53], v[12:13], v[32:33], v[24:25]
	v_fma_f64 v[54:55], v[14:15], v[32:33], -v[26:27]
	global_load_b128 v[12:15], v255, s[8:9] offset:1248
	v_fma_f64 v[56:57], v[16:17], v[4:5], v[28:29]
	s_wait_loadcnt 0x1
	v_mul_f64_e32 v[16:17], v[20:21], v[10:11]
	v_mul_f64_e32 v[24:25], v[22:23], v[10:11]
	v_fma_f64 v[58:59], v[18:19], v[4:5], -v[30:31]
	scratch_store_b128 off, v[8:11], off offset:48 ; 16-byte Folded Spill
	v_fma_f64 v[62:63], v[22:23], v[8:9], -v[16:17]
	global_load_b128 v[16:19], v[2:3], off
	v_add_co_u32 v2, vcc_lo, v2, s2
	s_wait_alu 0xfffd
	v_add_co_ci_u32_e32 v3, vcc_lo, s3, v3, vcc_lo
	v_fma_f64 v[60:61], v[20:21], v[8:9], v[24:25]
	global_load_b128 v[24:27], v[2:3], off
	v_add_co_u32 v2, vcc_lo, v2, s2
	s_wait_alu 0xfffd
	v_add_co_ci_u32_e32 v3, vcc_lo, s3, v3, vcc_lo
	s_wait_loadcnt 0x2
	scratch_store_b128 off, v[12:15], off offset:64 ; 16-byte Folded Spill
	s_clause 0x1
	global_load_b128 v[4:7], v255, s[8:9] offset:1664
	global_load_b128 v[8:11], v255, s[8:9] offset:2080
	s_wait_loadcnt 0x3
	v_mul_f64_e32 v[20:21], v[18:19], v[14:15]
	v_mul_f64_e32 v[22:23], v[16:17], v[14:15]
	s_delay_alu instid0(VALU_DEP_2) | instskip(NEXT) | instid1(VALU_DEP_2)
	v_fma_f64 v[64:65], v[16:17], v[12:13], v[20:21]
	v_fma_f64 v[66:67], v[18:19], v[12:13], -v[22:23]
	s_wait_loadcnt 0x1
	v_mul_f64_e32 v[28:29], v[26:27], v[6:7]
	v_mul_f64_e32 v[30:31], v[24:25], v[6:7]
	scratch_store_b128 off, v[4:7], off offset:80 ; 16-byte Folded Spill
	s_wait_loadcnt 0x0
	scratch_store_b128 off, v[8:11], off offset:96 ; 16-byte Folded Spill
	v_fma_f64 v[68:69], v[24:25], v[4:5], v[28:29]
	v_fma_f64 v[70:71], v[26:27], v[4:5], -v[30:31]
	global_load_b128 v[24:27], v[2:3], off
	v_add_co_u32 v2, vcc_lo, v2, s2
	s_wait_alu 0xfffd
	v_add_co_ci_u32_e32 v3, vcc_lo, s3, v3, vcc_lo
	s_wait_loadcnt 0x0
	v_mul_f64_e32 v[28:29], v[26:27], v[10:11]
	v_mul_f64_e32 v[30:31], v[24:25], v[10:11]
	s_delay_alu instid0(VALU_DEP_2) | instskip(NEXT) | instid1(VALU_DEP_2)
	v_fma_f64 v[72:73], v[24:25], v[8:9], v[28:29]
	v_fma_f64 v[74:75], v[26:27], v[8:9], -v[30:31]
	global_load_b128 v[32:35], v[2:3], off
	s_clause 0x1
	global_load_b128 v[24:27], v255, s[8:9] offset:2496
	global_load_b128 v[28:31], v255, s[8:9] offset:2912
	v_add_co_u32 v2, vcc_lo, v2, s2
	s_wait_alu 0xfffd
	v_add_co_ci_u32_e32 v3, vcc_lo, s3, v3, vcc_lo
	s_wait_loadcnt 0x1
	v_mul_f64_e32 v[36:37], v[34:35], v[26:27]
	v_mul_f64_e32 v[38:39], v[32:33], v[26:27]
	s_delay_alu instid0(VALU_DEP_2) | instskip(NEXT) | instid1(VALU_DEP_2)
	v_fma_f64 v[76:77], v[32:33], v[24:25], v[36:37]
	v_fma_f64 v[78:79], v[34:35], v[24:25], -v[38:39]
	global_load_b128 v[32:35], v[2:3], off
	v_add_co_u32 v2, vcc_lo, v2, s2
	s_wait_alu 0xfffd
	v_add_co_ci_u32_e32 v3, vcc_lo, s3, v3, vcc_lo
	s_wait_loadcnt 0x0
	v_mul_f64_e32 v[36:37], v[34:35], v[30:31]
	v_mul_f64_e32 v[38:39], v[32:33], v[30:31]
	s_delay_alu instid0(VALU_DEP_2) | instskip(NEXT) | instid1(VALU_DEP_2)
	v_fma_f64 v[80:81], v[32:33], v[28:29], v[36:37]
	v_fma_f64 v[82:83], v[34:35], v[28:29], -v[38:39]
	global_load_b128 v[40:43], v[2:3], off
	s_clause 0x1
	global_load_b128 v[32:35], v255, s[8:9] offset:3328
	global_load_b128 v[36:39], v255, s[8:9] offset:3744
	v_add_co_u32 v2, vcc_lo, v2, s2
	s_wait_alu 0xfffd
	v_add_co_ci_u32_e32 v3, vcc_lo, s3, v3, vcc_lo
	s_wait_loadcnt 0x1
	v_mul_f64_e32 v[44:45], v[42:43], v[34:35]
	v_mul_f64_e32 v[46:47], v[40:41], v[34:35]
	s_delay_alu instid0(VALU_DEP_2) | instskip(NEXT) | instid1(VALU_DEP_2)
	;; [unrolled: 23-line block ×3, first 2 shown]
	v_fma_f64 v[93:94], v[48:49], v[40:41], v[93:94]
	v_fma_f64 v[95:96], v[50:51], v[40:41], -v[95:96]
	global_load_b128 v[48:51], v[2:3], off
	v_add_co_u32 v2, vcc_lo, v2, s2
	s_wait_alu 0xfffd
	v_add_co_ci_u32_e32 v3, vcc_lo, s3, v3, vcc_lo
	v_cmp_eq_u32_e32 vcc_lo, 1, v0
	s_mov_b32 s2, 0x93053d00
	s_mov_b32 s3, 0xbfef11f4
	s_wait_alu 0xfffd
	v_cndmask_b32_e64 v4, 0, 0x1520, vcc_lo
	v_cmp_gt_u16_e32 vcc_lo, 13, v88
	s_delay_alu instid0(VALU_DEP_2) | instskip(SKIP_3) | instid1(VALU_DEP_2)
	v_add_nc_u32_e32 v184, v4, v255
	s_wait_loadcnt 0x0
	v_mul_f64_e32 v[97:98], v[50:51], v[46:47]
	v_mul_f64_e32 v[99:100], v[48:49], v[46:47]
	v_fma_f64 v[97:98], v[48:49], v[44:45], v[97:98]
	s_delay_alu instid0(VALU_DEP_2)
	v_fma_f64 v[99:100], v[50:51], v[44:45], -v[99:100]
	global_load_b128 v[101:104], v[2:3], off
	global_load_b128 v[48:51], v255, s[8:9] offset:4992
	s_wait_loadcnt 0x0
	v_mul_f64_e32 v[2:3], v[103:104], v[50:51]
	v_mul_f64_e32 v[105:106], v[101:102], v[50:51]
	s_delay_alu instid0(VALU_DEP_2) | instskip(NEXT) | instid1(VALU_DEP_2)
	v_fma_f64 v[101:102], v[101:102], v[48:49], v[2:3]
	v_fma_f64 v[103:104], v[103:104], v[48:49], -v[105:106]
	ds_store_b128 v184, v[52:55]
	ds_store_b128 v184, v[56:59] offset:416
	ds_store_b128 v184, v[60:63] offset:832
	;; [unrolled: 1-line block ×12, first 2 shown]
	s_load_b128 s[4:7], s[6:7], 0x0
	global_wb scope:SCOPE_SE
	s_wait_storecnt_dscnt 0x0
	s_wait_kmcnt 0x0
	s_barrier_signal -1
	s_barrier_wait -1
	global_inv scope:SCOPE_SE
	ds_load_b128 v[52:55], v184
	ds_load_b128 v[56:59], v184 offset:416
	ds_load_b128 v[60:63], v184 offset:832
	;; [unrolled: 1-line block ×5, first 2 shown]
	s_wait_dscnt 0x4
	v_add_f64_e32 v[0:1], v[52:53], v[56:57]
	v_add_f64_e32 v[2:3], v[54:55], v[58:59]
	s_wait_dscnt 0x3
	s_delay_alu instid0(VALU_DEP_2) | instskip(NEXT) | instid1(VALU_DEP_2)
	v_add_f64_e32 v[0:1], v[0:1], v[60:61]
	v_add_f64_e32 v[2:3], v[2:3], v[62:63]
	s_wait_dscnt 0x2
	s_delay_alu instid0(VALU_DEP_2) | instskip(NEXT) | instid1(VALU_DEP_2)
	;; [unrolled: 4-line block ×4, first 2 shown]
	v_add_f64_e32 v[76:77], v[0:1], v[72:73]
	v_add_f64_e32 v[78:79], v[2:3], v[74:75]
	ds_load_b128 v[0:3], v184 offset:2496
	ds_load_b128 v[84:87], v184 offset:2912
	s_wait_dscnt 0x0
	v_add_f64_e64 v[80:81], v[0:1], -v[84:85]
	v_add_f64_e64 v[82:83], v[2:3], -v[86:87]
	v_add_f64_e32 v[89:90], v[76:77], v[0:1]
	v_add_f64_e32 v[91:92], v[78:79], v[2:3]
	;; [unrolled: 1-line block ×4, first 2 shown]
	v_mul_f64_e32 v[187:188], s[22:23], v[80:81]
	v_mul_f64_e32 v[185:186], s[22:23], v[82:83]
	v_mul_f64_e32 v[223:224], s[24:25], v[82:83]
	v_mul_f64_e32 v[225:226], s[24:25], v[80:81]
	v_add_f64_e32 v[97:98], v[89:90], v[84:85]
	v_add_f64_e32 v[99:100], v[91:92], v[86:87]
	ds_load_b128 v[89:92], v184 offset:3328
	ds_load_b128 v[93:96], v184 offset:3744
	s_wait_dscnt 0x1
	v_add_f64_e32 v[0:1], v[72:73], v[89:90]
	v_add_f64_e32 v[2:3], v[74:75], v[91:92]
	v_add_f64_e64 v[84:85], v[72:73], -v[89:90]
	v_add_f64_e64 v[86:87], v[74:75], -v[91:92]
	s_wait_dscnt 0x0
	v_add_f64_e32 v[72:73], v[68:69], v[93:94]
	v_add_f64_e32 v[74:75], v[70:71], v[95:96]
	v_add_f64_e64 v[68:69], v[68:69], -v[93:94]
	v_add_f64_e64 v[70:71], v[70:71], -v[95:96]
	v_add_f64_e32 v[89:90], v[97:98], v[89:90]
	v_add_f64_e32 v[91:92], v[99:100], v[91:92]
	v_mul_f64_e32 v[161:162], s[36:37], v[84:85]
	v_mul_f64_e32 v[159:160], s[36:37], v[86:87]
	;; [unrolled: 1-line block ×8, first 2 shown]
	v_add_f64_e32 v[97:98], v[89:90], v[93:94]
	v_add_f64_e32 v[99:100], v[91:92], v[95:96]
	ds_load_b128 v[89:92], v184 offset:4160
	ds_load_b128 v[93:96], v184 offset:4576
	scratch_store_b32 off, v4, off          ; 4-byte Folded Spill
	s_wait_dscnt 0x1
	v_add_f64_e32 v[121:122], v[64:65], v[89:90]
	v_add_f64_e32 v[123:124], v[66:67], v[91:92]
	v_add_f64_e64 v[125:126], v[64:65], -v[89:90]
	v_add_f64_e64 v[127:128], v[66:67], -v[91:92]
	s_wait_dscnt 0x0
	v_add_f64_e64 v[129:130], v[62:63], -v[95:96]
	v_add_f64_e64 v[131:132], v[60:61], -v[93:94]
	v_add_f64_e32 v[133:134], v[60:61], v[93:94]
	v_add_f64_e32 v[135:136], v[62:63], v[95:96]
	ds_load_b128 v[60:63], v184 offset:4992
	global_wb scope:SCOPE_SE
	s_wait_storecnt_dscnt 0x0
	s_barrier_signal -1
	s_barrier_wait -1
	global_inv scope:SCOPE_SE
	v_add_f64_e32 v[64:65], v[97:98], v[89:90]
	v_add_f64_e32 v[66:67], v[99:100], v[91:92]
	v_add_f64_e64 v[89:90], v[58:59], -v[62:63]
	v_add_f64_e64 v[91:92], v[56:57], -v[60:61]
	v_add_f64_e32 v[56:57], v[56:57], v[60:61]
	v_add_f64_e32 v[58:59], v[58:59], v[62:63]
	v_mul_f64_e32 v[173:174], s[40:41], v[125:126]
	v_mul_f64_e32 v[171:172], s[40:41], v[127:128]
	;; [unrolled: 1-line block ×5, first 2 shown]
	s_mov_b32 s41, 0x3fea55e2
	s_mov_b32 s40, s28
	v_mul_f64_e32 v[207:208], s[36:37], v[129:130]
	s_wait_alu 0xfffe
	v_mul_f64_e32 v[203:204], s[40:41], v[82:83]
	v_mul_f64_e32 v[205:206], s[40:41], v[80:81]
	v_mul_f64_e32 v[209:210], s[36:37], v[131:132]
	v_mul_f64_e32 v[211:212], s[28:29], v[127:128]
	v_mul_f64_e32 v[213:214], s[28:29], v[125:126]
	v_add_f64_e32 v[64:65], v[64:65], v[93:94]
	v_add_f64_e32 v[66:67], v[66:67], v[95:96]
	v_mul_f64_e32 v[93:94], s[26:27], v[89:90]
	v_mul_f64_e32 v[95:96], s[24:25], v[89:90]
	;; [unrolled: 1-line block ×7, first 2 shown]
	v_add_f64_e32 v[60:61], v[64:65], v[60:61]
	v_add_f64_e32 v[62:63], v[66:67], v[62:63]
	v_mul_f64_e32 v[64:65], s[34:35], v[89:90]
	v_mul_f64_e32 v[66:67], s[28:29], v[89:90]
	;; [unrolled: 1-line block ×3, first 2 shown]
	v_fma_f64 v[103:104], v[56:57], s[18:19], -v[93:94]
	v_fma_f64 v[93:94], v[56:57], s[18:19], v[93:94]
	v_fma_f64 v[105:106], v[56:57], s[14:15], -v[95:96]
	v_fma_f64 v[95:96], v[56:57], s[14:15], v[95:96]
	;; [unrolled: 2-line block ×3, first 2 shown]
	v_fma_f64 v[137:138], v[58:59], s[20:21], v[111:112]
	v_fma_f64 v[111:112], v[58:59], s[20:21], -v[111:112]
	v_fma_f64 v[143:144], v[58:59], s[12:13], v[117:118]
	v_fma_f64 v[117:118], v[58:59], s[12:13], -v[117:118]
	v_fma_f64 v[139:140], v[58:59], s[18:19], v[113:114]
	v_fma_f64 v[141:142], v[58:59], s[14:15], v[115:116]
	v_fma_f64 v[113:114], v[58:59], s[18:19], -v[113:114]
	v_fma_f64 v[115:116], v[58:59], s[14:15], -v[115:116]
	;; [unrolled: 1-line block ×3, first 2 shown]
	v_fma_f64 v[64:65], v[56:57], s[30:31], v[64:65]
	v_fma_f64 v[101:102], v[56:57], s[20:21], -v[66:67]
	v_fma_f64 v[66:67], v[56:57], s[20:21], v[66:67]
	v_fma_f64 v[109:110], v[56:57], s[2:3], -v[89:90]
	v_fma_f64 v[56:57], v[56:57], s[2:3], v[89:90]
	v_mul_f64_e32 v[89:90], s[34:35], v[91:92]
	v_mul_f64_e32 v[91:92], s[16:17], v[91:92]
	s_mov_b32 s35, 0x3fddbe06
	s_wait_alu 0xfffe
	v_mul_f64_e32 v[163:164], s[34:35], v[82:83]
	v_mul_f64_e32 v[165:166], s[34:35], v[80:81]
	;; [unrolled: 1-line block ×9, first 2 shown]
	v_add_f64_e32 v[113:114], v[54:55], v[113:114]
	v_add_f64_e32 v[115:116], v[54:55], v[115:116]
	;; [unrolled: 1-line block ×8, first 2 shown]
	v_fma_f64 v[119:120], v[58:59], s[30:31], v[89:90]
	v_fma_f64 v[89:90], v[58:59], s[30:31], -v[89:90]
	v_fma_f64 v[145:146], v[58:59], s[2:3], v[91:92]
	v_fma_f64 v[58:59], v[58:59], s[2:3], -v[91:92]
	v_add_f64_e32 v[91:92], v[54:55], v[139:140]
	v_add_f64_e32 v[139:140], v[52:53], v[93:94]
	;; [unrolled: 1-line block ×5, first 2 shown]
	v_mul_f64_e32 v[141:142], s[24:25], v[131:132]
	v_mul_f64_e32 v[143:144], s[16:17], v[127:128]
	;; [unrolled: 1-line block ×3, first 2 shown]
	s_mov_b32 s39, 0x3fcea1e5
	s_mov_b32 s38, s16
	s_wait_alu 0xfffe
	v_mul_f64_e32 v[199:200], s[38:39], v[86:87]
	v_mul_f64_e32 v[201:202], s[38:39], v[84:85]
	;; [unrolled: 1-line block ×4, first 2 shown]
	v_add_f64_e32 v[149:150], v[54:55], v[119:120]
	v_add_f64_e32 v[153:154], v[54:55], v[89:90]
	;; [unrolled: 1-line block ×7, first 2 shown]
	v_mul_f64_e32 v[117:118], s[24:25], v[129:130]
	v_add_f64_e32 v[119:120], v[52:53], v[66:67]
	v_add_f64_e32 v[66:67], v[52:53], v[103:104]
	;; [unrolled: 1-line block ×4, first 2 shown]
	v_fma_f64 v[54:55], v[135:136], s[14:15], v[141:142]
	v_mul_f64_e32 v[145:146], s[16:17], v[125:126]
	v_fma_f64 v[52:53], v[133:134], s[14:15], -v[117:118]
	s_delay_alu instid0(VALU_DEP_3) | instskip(SKIP_1) | instid1(VALU_DEP_3)
	v_add_f64_e32 v[54:55], v[54:55], v[89:90]
	v_fma_f64 v[89:90], v[121:122], s[14:15], -v[171:172]
	v_add_f64_e32 v[52:53], v[52:53], v[64:65]
	v_fma_f64 v[64:65], v[121:122], s[2:3], -v[143:144]
	s_delay_alu instid0(VALU_DEP_1) | instskip(SKIP_1) | instid1(VALU_DEP_1)
	v_add_f64_e32 v[52:53], v[64:65], v[52:53]
	v_fma_f64 v[64:65], v[123:124], s[2:3], v[145:146]
	v_add_f64_e32 v[54:55], v[64:65], v[54:55]
	v_fma_f64 v[64:65], v[72:73], s[12:13], -v[155:156]
	s_delay_alu instid0(VALU_DEP_1) | instskip(SKIP_1) | instid1(VALU_DEP_1)
	v_add_f64_e32 v[52:53], v[64:65], v[52:53]
	v_fma_f64 v[64:65], v[74:75], s[12:13], v[157:158]
	;; [unrolled: 5-line block ×4, first 2 shown]
	v_add_f64_e32 v[54:55], v[64:65], v[54:55]
	v_fma_f64 v[64:65], v[133:134], s[2:3], -v[167:168]
	s_delay_alu instid0(VALU_DEP_1) | instskip(SKIP_1) | instid1(VALU_DEP_2)
	v_add_f64_e32 v[64:65], v[64:65], v[66:67]
	v_fma_f64 v[66:67], v[135:136], s[2:3], v[169:170]
	v_add_f64_e32 v[64:65], v[89:90], v[64:65]
	s_delay_alu instid0(VALU_DEP_2) | instskip(SKIP_2) | instid1(VALU_DEP_2)
	v_add_f64_e32 v[66:67], v[66:67], v[91:92]
	v_fma_f64 v[89:90], v[123:124], s[14:15], v[173:174]
	v_fma_f64 v[91:92], v[135:136], s[12:13], v[189:190]
	v_add_f64_e32 v[66:67], v[89:90], v[66:67]
	v_fma_f64 v[89:90], v[72:73], s[30:31], -v[175:176]
	s_delay_alu instid0(VALU_DEP_3) | instskip(SKIP_1) | instid1(VALU_DEP_3)
	v_add_f64_e32 v[91:92], v[91:92], v[99:100]
	v_fma_f64 v[99:100], v[121:122], s[20:21], -v[211:212]
	v_add_f64_e32 v[64:65], v[89:90], v[64:65]
	v_fma_f64 v[89:90], v[74:75], s[30:31], v[177:178]
	s_delay_alu instid0(VALU_DEP_1) | instskip(SKIP_1) | instid1(VALU_DEP_1)
	v_add_f64_e32 v[66:67], v[89:90], v[66:67]
	v_fma_f64 v[89:90], v[0:1], s[20:21], -v[179:180]
	v_add_f64_e32 v[64:65], v[89:90], v[64:65]
	v_fma_f64 v[89:90], v[2:3], s[20:21], v[181:182]
	s_delay_alu instid0(VALU_DEP_1) | instskip(SKIP_1) | instid1(VALU_DEP_1)
	;; [unrolled: 5-line block ×3, first 2 shown]
	v_add_f64_e32 v[66:67], v[89:90], v[66:67]
	v_fma_f64 v[89:90], v[133:134], s[12:13], -v[109:110]
	v_add_f64_e32 v[89:90], v[89:90], v[93:94]
	v_fma_f64 v[93:94], v[121:122], s[30:31], -v[191:192]
	s_delay_alu instid0(VALU_DEP_1) | instskip(SKIP_1) | instid1(VALU_DEP_1)
	v_add_f64_e32 v[89:90], v[93:94], v[89:90]
	v_fma_f64 v[93:94], v[123:124], s[30:31], v[193:194]
	v_add_f64_e32 v[91:92], v[93:94], v[91:92]
	v_fma_f64 v[93:94], v[72:73], s[18:19], -v[195:196]
	s_delay_alu instid0(VALU_DEP_1) | instskip(SKIP_1) | instid1(VALU_DEP_1)
	v_add_f64_e32 v[89:90], v[93:94], v[89:90]
	v_fma_f64 v[93:94], v[74:75], s[18:19], v[197:198]
	;; [unrolled: 5-line block ×4, first 2 shown]
	v_add_f64_e32 v[91:92], v[93:94], v[91:92]
	v_fma_f64 v[93:94], v[133:134], s[18:19], -v[207:208]
	s_delay_alu instid0(VALU_DEP_1) | instskip(SKIP_1) | instid1(VALU_DEP_2)
	v_add_f64_e32 v[93:94], v[93:94], v[95:96]
	v_fma_f64 v[95:96], v[135:136], s[18:19], v[209:210]
	v_add_f64_e32 v[93:94], v[99:100], v[93:94]
	s_delay_alu instid0(VALU_DEP_2) | instskip(SKIP_2) | instid1(VALU_DEP_2)
	v_add_f64_e32 v[95:96], v[95:96], v[101:102]
	v_fma_f64 v[99:100], v[123:124], s[20:21], v[213:214]
	v_mul_f64_e32 v[101:102], s[34:35], v[129:130]
	v_add_f64_e32 v[95:96], v[99:100], v[95:96]
	v_fma_f64 v[99:100], v[72:73], s[2:3], -v[215:216]
	s_delay_alu instid0(VALU_DEP_1) | instskip(SKIP_1) | instid1(VALU_DEP_1)
	v_add_f64_e32 v[93:94], v[99:100], v[93:94]
	v_fma_f64 v[99:100], v[74:75], s[2:3], v[217:218]
	v_add_f64_e32 v[95:96], v[99:100], v[95:96]
	v_fma_f64 v[99:100], v[0:1], s[30:31], -v[219:220]
	s_delay_alu instid0(VALU_DEP_1) | instskip(SKIP_1) | instid1(VALU_DEP_1)
	v_add_f64_e32 v[93:94], v[99:100], v[93:94]
	v_fma_f64 v[99:100], v[2:3], s[30:31], v[221:222]
	;; [unrolled: 5-line block ×3, first 2 shown]
	v_add_f64_e32 v[95:96], v[99:100], v[95:96]
	v_fma_f64 v[99:100], v[133:134], s[30:31], -v[101:102]
	v_fma_f64 v[101:102], v[133:134], s[30:31], v[101:102]
	s_delay_alu instid0(VALU_DEP_2) | instskip(SKIP_1) | instid1(VALU_DEP_3)
	v_add_f64_e32 v[97:98], v[99:100], v[97:98]
	v_fma_f64 v[99:100], v[135:136], s[30:31], v[227:228]
	v_add_f64_e32 v[56:57], v[101:102], v[56:57]
	v_fma_f64 v[101:102], v[135:136], s[30:31], -v[227:228]
	s_delay_alu instid0(VALU_DEP_3) | instskip(SKIP_1) | instid1(VALU_DEP_3)
	v_add_f64_e32 v[99:100], v[99:100], v[103:104]
	v_mul_f64_e32 v[103:104], s[22:23], v[127:128]
	v_add_f64_e32 v[58:59], v[101:102], v[58:59]
	v_mul_f64_e32 v[127:128], s[26:27], v[127:128]
	s_delay_alu instid0(VALU_DEP_3) | instskip(SKIP_1) | instid1(VALU_DEP_2)
	v_fma_f64 v[229:230], v[121:122], s[12:13], -v[103:104]
	v_fma_f64 v[101:102], v[121:122], s[12:13], v[103:104]
	v_add_f64_e32 v[97:98], v[229:230], v[97:98]
	v_mul_f64_e32 v[229:230], s[22:23], v[125:126]
	s_delay_alu instid0(VALU_DEP_3) | instskip(SKIP_1) | instid1(VALU_DEP_3)
	v_add_f64_e32 v[56:57], v[101:102], v[56:57]
	v_mul_f64_e32 v[125:126], s[26:27], v[125:126]
	v_fma_f64 v[231:232], v[123:124], s[12:13], v[229:230]
	v_fma_f64 v[101:102], v[123:124], s[12:13], -v[229:230]
	s_delay_alu instid0(VALU_DEP_2) | instskip(SKIP_1) | instid1(VALU_DEP_3)
	v_add_f64_e32 v[99:100], v[231:232], v[99:100]
	v_mul_f64_e32 v[231:232], s[40:41], v[70:71]
	v_add_f64_e32 v[58:59], v[101:102], v[58:59]
	s_delay_alu instid0(VALU_DEP_2) | instskip(SKIP_1) | instid1(VALU_DEP_2)
	v_fma_f64 v[233:234], v[72:73], s[20:21], -v[231:232]
	v_fma_f64 v[101:102], v[72:73], s[20:21], v[231:232]
	v_add_f64_e32 v[97:98], v[233:234], v[97:98]
	v_mul_f64_e32 v[233:234], s[40:41], v[68:69]
	s_delay_alu instid0(VALU_DEP_3) | instskip(NEXT) | instid1(VALU_DEP_2)
	v_add_f64_e32 v[56:57], v[101:102], v[56:57]
	v_fma_f64 v[235:236], v[74:75], s[20:21], v[233:234]
	v_fma_f64 v[101:102], v[74:75], s[20:21], -v[233:234]
	s_delay_alu instid0(VALU_DEP_2) | instskip(SKIP_1) | instid1(VALU_DEP_3)
	v_add_f64_e32 v[99:100], v[235:236], v[99:100]
	v_mul_f64_e32 v[235:236], s[24:25], v[86:87]
	v_add_f64_e32 v[58:59], v[101:102], v[58:59]
	v_mul_f64_e32 v[86:87], s[22:23], v[86:87]
	s_delay_alu instid0(VALU_DEP_3) | instskip(SKIP_1) | instid1(VALU_DEP_2)
	v_fma_f64 v[237:238], v[0:1], s[14:15], -v[235:236]
	v_fma_f64 v[101:102], v[0:1], s[14:15], v[235:236]
	v_add_f64_e32 v[97:98], v[237:238], v[97:98]
	v_mul_f64_e32 v[237:238], s[24:25], v[84:85]
	s_delay_alu instid0(VALU_DEP_3) | instskip(SKIP_1) | instid1(VALU_DEP_3)
	v_add_f64_e32 v[56:57], v[101:102], v[56:57]
	v_mul_f64_e32 v[84:85], s[22:23], v[84:85]
	v_fma_f64 v[239:240], v[2:3], s[14:15], v[237:238]
	v_fma_f64 v[101:102], v[2:3], s[14:15], -v[237:238]
	s_delay_alu instid0(VALU_DEP_2) | instskip(SKIP_1) | instid1(VALU_DEP_3)
	v_add_f64_e32 v[99:100], v[239:240], v[99:100]
	v_mul_f64_e32 v[239:240], s[36:37], v[82:83]
	v_add_f64_e32 v[58:59], v[101:102], v[58:59]
	v_mul_f64_e32 v[82:83], s[16:17], v[82:83]
	s_delay_alu instid0(VALU_DEP_3) | instskip(SKIP_1) | instid1(VALU_DEP_2)
	v_fma_f64 v[241:242], v[76:77], s[18:19], -v[239:240]
	v_fma_f64 v[101:102], v[76:77], s[18:19], v[239:240]
	v_add_f64_e32 v[97:98], v[241:242], v[97:98]
	v_mul_f64_e32 v[241:242], s[36:37], v[80:81]
	s_delay_alu instid0(VALU_DEP_3) | instskip(SKIP_2) | instid1(VALU_DEP_4)
	v_add_f64_e32 v[101:102], v[101:102], v[56:57]
	v_fma_f64 v[56:57], v[133:134], s[18:19], v[207:208]
	v_mul_f64_e32 v[80:81], s[16:17], v[80:81]
	v_fma_f64 v[103:104], v[78:79], s[18:19], -v[241:242]
	v_fma_f64 v[243:244], v[78:79], s[18:19], v[241:242]
	s_delay_alu instid0(VALU_DEP_4) | instskip(SKIP_1) | instid1(VALU_DEP_4)
	v_add_f64_e32 v[56:57], v[56:57], v[105:106]
	v_fma_f64 v[105:106], v[121:122], s[20:21], v[211:212]
	v_add_f64_e32 v[103:104], v[103:104], v[58:59]
	v_fma_f64 v[58:59], v[135:136], s[18:19], -v[209:210]
	v_add_f64_e32 v[99:100], v[243:244], v[99:100]
	s_delay_alu instid0(VALU_DEP_4) | instskip(SKIP_1) | instid1(VALU_DEP_4)
	v_add_f64_e32 v[56:57], v[105:106], v[56:57]
	v_fma_f64 v[105:106], v[123:124], s[20:21], -v[213:214]
	v_add_f64_e32 v[58:59], v[58:59], v[107:108]
	v_fma_f64 v[107:108], v[78:79], s[14:15], -v[225:226]
	s_delay_alu instid0(VALU_DEP_2) | instskip(SKIP_1) | instid1(VALU_DEP_1)
	v_add_f64_e32 v[58:59], v[105:106], v[58:59]
	v_fma_f64 v[105:106], v[72:73], s[2:3], v[215:216]
	v_add_f64_e32 v[56:57], v[105:106], v[56:57]
	v_fma_f64 v[105:106], v[74:75], s[2:3], -v[217:218]
	s_delay_alu instid0(VALU_DEP_1) | instskip(SKIP_1) | instid1(VALU_DEP_1)
	v_add_f64_e32 v[58:59], v[105:106], v[58:59]
	v_fma_f64 v[105:106], v[0:1], s[30:31], v[219:220]
	v_add_f64_e32 v[56:57], v[105:106], v[56:57]
	v_fma_f64 v[105:106], v[2:3], s[30:31], -v[221:222]
	s_delay_alu instid0(VALU_DEP_1) | instskip(SKIP_1) | instid1(VALU_DEP_2)
	v_add_f64_e32 v[58:59], v[105:106], v[58:59]
	v_fma_f64 v[105:106], v[76:77], s[14:15], v[223:224]
	v_add_f64_e32 v[107:108], v[107:108], v[58:59]
	s_delay_alu instid0(VALU_DEP_2) | instskip(SKIP_3) | instid1(VALU_DEP_3)
	v_add_f64_e32 v[105:106], v[105:106], v[56:57]
	v_fma_f64 v[56:57], v[133:134], s[12:13], v[109:110]
	v_fma_f64 v[58:59], v[135:136], s[12:13], -v[189:190]
	v_fma_f64 v[109:110], v[121:122], s[30:31], v[191:192]
	v_add_f64_e32 v[56:57], v[56:57], v[111:112]
	s_delay_alu instid0(VALU_DEP_3) | instskip(SKIP_2) | instid1(VALU_DEP_4)
	v_add_f64_e32 v[58:59], v[58:59], v[115:116]
	v_fma_f64 v[111:112], v[78:79], s[20:21], -v[205:206]
	v_fma_f64 v[115:116], v[78:79], s[12:13], -v[187:188]
	v_add_f64_e32 v[56:57], v[109:110], v[56:57]
	v_fma_f64 v[109:110], v[123:124], s[30:31], -v[193:194]
	s_delay_alu instid0(VALU_DEP_1) | instskip(SKIP_1) | instid1(VALU_DEP_1)
	v_add_f64_e32 v[58:59], v[109:110], v[58:59]
	v_fma_f64 v[109:110], v[72:73], s[18:19], v[195:196]
	v_add_f64_e32 v[56:57], v[109:110], v[56:57]
	v_fma_f64 v[109:110], v[74:75], s[18:19], -v[197:198]
	s_delay_alu instid0(VALU_DEP_1) | instskip(SKIP_1) | instid1(VALU_DEP_1)
	v_add_f64_e32 v[58:59], v[109:110], v[58:59]
	v_fma_f64 v[109:110], v[0:1], s[2:3], v[199:200]
	v_add_f64_e32 v[56:57], v[109:110], v[56:57]
	v_fma_f64 v[109:110], v[2:3], s[2:3], -v[201:202]
	s_delay_alu instid0(VALU_DEP_1) | instskip(SKIP_1) | instid1(VALU_DEP_2)
	v_add_f64_e32 v[58:59], v[109:110], v[58:59]
	v_fma_f64 v[109:110], v[76:77], s[20:21], v[203:204]
	v_add_f64_e32 v[111:112], v[111:112], v[58:59]
	s_delay_alu instid0(VALU_DEP_2) | instskip(SKIP_2) | instid1(VALU_DEP_2)
	v_add_f64_e32 v[109:110], v[109:110], v[56:57]
	v_fma_f64 v[56:57], v[133:134], s[2:3], v[167:168]
	v_fma_f64 v[58:59], v[135:136], s[2:3], -v[169:170]
	v_add_f64_e32 v[56:57], v[56:57], v[139:140]
	s_delay_alu instid0(VALU_DEP_2) | instskip(SKIP_2) | instid1(VALU_DEP_2)
	v_add_f64_e32 v[58:59], v[58:59], v[113:114]
	v_fma_f64 v[113:114], v[121:122], s[14:15], v[171:172]
	v_mul_f64_e32 v[139:140], s[24:25], v[68:69]
	v_add_f64_e32 v[56:57], v[113:114], v[56:57]
	v_fma_f64 v[113:114], v[123:124], s[14:15], -v[173:174]
	s_delay_alu instid0(VALU_DEP_3) | instskip(NEXT) | instid1(VALU_DEP_2)
	v_fma_f64 v[68:69], v[74:75], s[14:15], v[139:140]
	v_add_f64_e32 v[58:59], v[113:114], v[58:59]
	v_fma_f64 v[113:114], v[72:73], s[30:31], v[175:176]
	s_delay_alu instid0(VALU_DEP_1) | instskip(SKIP_1) | instid1(VALU_DEP_1)
	v_add_f64_e32 v[56:57], v[113:114], v[56:57]
	v_fma_f64 v[113:114], v[74:75], s[30:31], -v[177:178]
	v_add_f64_e32 v[58:59], v[113:114], v[58:59]
	v_fma_f64 v[113:114], v[0:1], s[20:21], v[179:180]
	s_delay_alu instid0(VALU_DEP_1) | instskip(SKIP_1) | instid1(VALU_DEP_1)
	v_add_f64_e32 v[56:57], v[113:114], v[56:57]
	v_fma_f64 v[113:114], v[2:3], s[20:21], -v[181:182]
	v_add_f64_e32 v[58:59], v[113:114], v[58:59]
	v_fma_f64 v[113:114], v[76:77], s[12:13], v[185:186]
	s_delay_alu instid0(VALU_DEP_2) | instskip(NEXT) | instid1(VALU_DEP_2)
	v_add_f64_e32 v[115:116], v[115:116], v[58:59]
	v_add_f64_e32 v[113:114], v[113:114], v[56:57]
	v_fma_f64 v[56:57], v[133:134], s[14:15], v[117:118]
	v_fma_f64 v[58:59], v[135:136], s[14:15], -v[141:142]
	v_fma_f64 v[117:118], v[121:122], s[2:3], v[143:144]
	s_delay_alu instid0(VALU_DEP_3) | instskip(NEXT) | instid1(VALU_DEP_3)
	v_add_f64_e32 v[56:57], v[56:57], v[119:120]
	v_add_f64_e32 v[58:59], v[58:59], v[137:138]
	v_fma_f64 v[119:120], v[78:79], s[30:31], -v[165:166]
	v_fma_f64 v[137:138], v[121:122], s[18:19], -v[127:128]
	v_fma_f64 v[121:122], v[121:122], s[18:19], v[127:128]
	v_add_f64_e32 v[56:57], v[117:118], v[56:57]
	v_fma_f64 v[117:118], v[123:124], s[2:3], -v[145:146]
	s_delay_alu instid0(VALU_DEP_1) | instskip(SKIP_1) | instid1(VALU_DEP_1)
	v_add_f64_e32 v[58:59], v[117:118], v[58:59]
	v_fma_f64 v[117:118], v[72:73], s[12:13], v[155:156]
	v_add_f64_e32 v[56:57], v[117:118], v[56:57]
	v_fma_f64 v[117:118], v[74:75], s[12:13], -v[157:158]
	v_fma_f64 v[74:75], v[74:75], s[14:15], -v[139:140]
	s_delay_alu instid0(VALU_DEP_2) | instskip(SKIP_1) | instid1(VALU_DEP_1)
	v_add_f64_e32 v[58:59], v[117:118], v[58:59]
	v_fma_f64 v[117:118], v[0:1], s[18:19], v[159:160]
	v_add_f64_e32 v[56:57], v[117:118], v[56:57]
	v_fma_f64 v[117:118], v[2:3], s[18:19], -v[161:162]
	s_delay_alu instid0(VALU_DEP_1) | instskip(SKIP_1) | instid1(VALU_DEP_2)
	v_add_f64_e32 v[58:59], v[117:118], v[58:59]
	v_fma_f64 v[117:118], v[76:77], s[30:31], v[163:164]
	v_add_f64_e32 v[119:120], v[119:120], v[58:59]
	s_delay_alu instid0(VALU_DEP_2) | instskip(SKIP_2) | instid1(VALU_DEP_2)
	v_add_f64_e32 v[117:118], v[117:118], v[56:57]
	v_mul_f64_e32 v[56:57], s[28:29], v[129:130]
	v_mul_f64_e32 v[129:130], s[28:29], v[131:132]
	v_fma_f64 v[58:59], v[133:134], s[20:21], -v[56:57]
	s_delay_alu instid0(VALU_DEP_2) | instskip(SKIP_1) | instid1(VALU_DEP_3)
	v_fma_f64 v[131:132], v[135:136], s[20:21], v[129:130]
	v_fma_f64 v[56:57], v[133:134], s[20:21], v[56:57]
	v_add_f64_e32 v[58:59], v[58:59], v[147:148]
	s_delay_alu instid0(VALU_DEP_3) | instskip(NEXT) | instid1(VALU_DEP_3)
	v_add_f64_e32 v[131:132], v[131:132], v[149:150]
	v_add_f64_e32 v[56:57], v[56:57], v[151:152]
	s_delay_alu instid0(VALU_DEP_3) | instskip(SKIP_2) | instid1(VALU_DEP_4)
	v_add_f64_e32 v[58:59], v[137:138], v[58:59]
	v_fma_f64 v[137:138], v[123:124], s[18:19], v[125:126]
	v_fma_f64 v[123:124], v[123:124], s[18:19], -v[125:126]
	v_add_f64_e32 v[56:57], v[121:122], v[56:57]
	s_delay_alu instid0(VALU_DEP_3) | instskip(SKIP_1) | instid1(VALU_DEP_2)
	v_add_f64_e32 v[131:132], v[137:138], v[131:132]
	v_mul_f64_e32 v[137:138], s[24:25], v[70:71]
	v_add_f64_e32 v[68:69], v[68:69], v[131:132]
	s_delay_alu instid0(VALU_DEP_2) | instskip(SKIP_1) | instid1(VALU_DEP_2)
	v_fma_f64 v[70:71], v[72:73], s[14:15], -v[137:138]
	v_fma_f64 v[72:73], v[72:73], s[14:15], v[137:138]
	v_add_f64_e32 v[58:59], v[70:71], v[58:59]
	v_fma_f64 v[70:71], v[0:1], s[12:13], -v[86:87]
	v_fma_f64 v[0:1], v[0:1], s[12:13], v[86:87]
	s_delay_alu instid0(VALU_DEP_4) | instskip(SKIP_1) | instid1(VALU_DEP_4)
	v_add_f64_e32 v[56:57], v[72:73], v[56:57]
	v_fma_f64 v[72:73], v[76:77], s[2:3], v[82:83]
	v_add_f64_e32 v[58:59], v[70:71], v[58:59]
	v_fma_f64 v[70:71], v[2:3], s[12:13], v[84:85]
	v_fma_f64 v[2:3], v[2:3], s[12:13], -v[84:85]
	v_add_f64_e32 v[0:1], v[0:1], v[56:57]
	s_delay_alu instid0(VALU_DEP_3) | instskip(SKIP_1) | instid1(VALU_DEP_3)
	v_add_f64_e32 v[70:71], v[70:71], v[68:69]
	v_fma_f64 v[68:69], v[76:77], s[2:3], -v[82:83]
	v_add_f64_e32 v[56:57], v[72:73], v[0:1]
	v_mul_lo_u16 v0, v88, 13
	s_delay_alu instid0(VALU_DEP_1) | instskip(NEXT) | instid1(VALU_DEP_1)
	v_and_b32_e32 v0, 0xffff, v0
	v_lshl_add_u32 v209, v0, 4, v4
	v_add_f64_e32 v[68:69], v[68:69], v[58:59]
	v_fma_f64 v[58:59], v[78:79], s[2:3], v[80:81]
	s_delay_alu instid0(VALU_DEP_1)
	v_add_f64_e32 v[70:71], v[58:59], v[70:71]
	v_fma_f64 v[58:59], v[135:136], s[20:21], -v[129:130]
	ds_store_b128 v209, v[52:55] offset:32
	ds_store_b128 v209, v[64:67] offset:48
	;; [unrolled: 1-line block ×11, first 2 shown]
	ds_store_b128 v209, v[60:63]
                                        ; implicit-def: $vgpr108_vgpr109
	v_add_f64_e32 v[58:59], v[58:59], v[153:154]
	s_delay_alu instid0(VALU_DEP_1) | instskip(NEXT) | instid1(VALU_DEP_1)
	v_add_f64_e32 v[58:59], v[123:124], v[58:59]
	v_add_f64_e32 v[58:59], v[74:75], v[58:59]
	v_fma_f64 v[74:75], v[78:79], s[2:3], -v[80:81]
	s_load_b64 s[2:3], s[0:1], 0x38
	v_add_co_u32 v140, s0, s8, v255
	s_wait_alu 0xf1ff
	v_add_co_ci_u32_e64 v141, null, s9, 0, s0
	s_delay_alu instid0(VALU_DEP_4) | instskip(NEXT) | instid1(VALU_DEP_1)
	v_add_f64_e32 v[2:3], v[2:3], v[58:59]
	v_add_f64_e32 v[58:59], v[74:75], v[2:3]
	ds_store_b128 v209, v[56:59] offset:192
	global_wb scope:SCOPE_SE
	s_wait_dscnt 0x0
	s_wait_kmcnt 0x0
	s_barrier_signal -1
	s_barrier_wait -1
	global_inv scope:SCOPE_SE
	ds_load_b128 v[92:95], v184
	ds_load_b128 v[60:63], v184 offset:416
	ds_load_b128 v[124:127], v184 offset:2704
	;; [unrolled: 1-line block ×11, first 2 shown]
	s_and_saveexec_b32 s0, vcc_lo
	s_cbranch_execz .LBB0_3
; %bb.2:
	ds_load_b128 v[56:59], v184 offset:2496
	ds_load_b128 v[108:111], v184 offset:5200
.LBB0_3:
	s_wait_alu 0xfffe
	s_or_b32 exec_lo, exec_lo, s0
	v_add_nc_u16 v2, v183, 26
	v_add_nc_u16 v3, v183, 52
	v_add_co_u32 v0, s0, v183, -13
	v_add_nc_u16 v4, v183, 0x4e
	s_delay_alu instid0(VALU_DEP_4) | instskip(NEXT) | instid1(VALU_DEP_4)
	v_and_b32_e32 v6, 0xff, v2
	v_and_b32_e32 v7, 0xff, v3
	v_add_nc_u16 v5, v183, 0x68
	v_add_nc_u16 v8, v183, 0x82
	v_dual_cndmask_b32 v136, v0, v183 :: v_dual_and_b32 v9, 0xff, v4
	v_mul_lo_u16 v6, 0x4f, v6
	v_mul_lo_u16 v7, 0x4f, v7
	v_and_b32_e32 v10, 0xff, v5
	v_and_b32_e32 v11, 0xff, v8
	v_mul_lo_u16 v9, 0x4f, v9
	v_lshrrev_b16 v6, 10, v6
	v_lshrrev_b16 v7, 10, v7
	v_mul_lo_u16 v10, 0x4f, v10
	s_wait_alu 0xf1ff
	v_add_co_ci_u32_e64 v1, null, 0, -1, s0
	v_mul_lo_u16 v11, 0x4f, v11
	v_mul_lo_u16 v12, v6, 13
	;; [unrolled: 1-line block ×3, first 2 shown]
	v_lshrrev_b16 v9, 10, v9
	v_lshrrev_b16 v10, 10, v10
	v_cndmask_b32_e64 v137, v1, 0, vcc_lo
	v_lshrrev_b16 v11, 10, v11
	v_sub_nc_u16 v12, v2, v12
	v_sub_nc_u16 v2, v3, v13
	v_mul_lo_u16 v3, v9, 13
	v_mul_lo_u16 v13, v10, 13
	v_lshlrev_b64_e32 v[0:1], 4, v[136:137]
	v_mul_lo_u16 v14, v11, 13
	v_and_b32_e32 v16, 0xff, v2
	v_sub_nc_u16 v2, v4, v3
	v_and_b32_e32 v15, 0xff, v12
	v_sub_nc_u16 v3, v5, v13
	v_sub_nc_u16 v4, v8, v14
	v_add_co_u32 v0, s0, s10, v0
	s_wait_alu 0xf1ff
	v_add_co_ci_u32_e64 v1, s0, s11, v1, s0
	v_and_b32_e32 v13, 0xff, v2
	v_lshlrev_b32_e32 v5, 4, v15
	v_and_b32_e32 v14, 0xff, v3
	v_and_b32_e32 v4, 0xff, v4
	v_lshlrev_b32_e32 v8, 4, v16
	s_clause 0x1
	global_load_b128 v[84:87], v[0:1], off
	global_load_b128 v[76:79], v5, s[10:11]
	v_lshlrev_b32_e32 v0, 4, v13
	v_lshlrev_b32_e32 v1, 4, v14
	;; [unrolled: 1-line block ×3, first 2 shown]
	s_clause 0x3
	global_load_b128 v[96:99], v8, s[10:11]
	global_load_b128 v[88:91], v0, s[10:11]
	global_load_b128 v[80:83], v1, s[10:11]
	global_load_b128 v[72:75], v2, s[10:11]
	v_add_nc_u16 v0, v183, 0x9c
	scratch_load_b32 v15, off, off          ; 4-byte Folded Reload
	v_cmp_lt_u16_e64 s0, 12, v183
	v_and_b32_e32 v8, 0xffff, v10
	v_mad_u16 v6, v6, 26, v12
	v_and_b32_e32 v1, 0xff, v0
	s_wait_alu 0xf1ff
	v_cndmask_b32_e64 v5, 0, 26, s0
	v_mul_u32_u24_e32 v8, 26, v8
	v_and_b32_e32 v6, 0xff, v6
	v_mul_lo_u16 v1, 0x4f, v1
	s_delay_alu instid0(VALU_DEP_4) | instskip(NEXT) | instid1(VALU_DEP_4)
	v_add_nc_u32_e32 v5, v136, v5
	v_add_nc_u32_e32 v8, v8, v14
	s_delay_alu instid0(VALU_DEP_3) | instskip(NEXT) | instid1(VALU_DEP_1)
	v_lshrrev_b16 v1, 10, v1
	v_mul_lo_u16 v1, v1, 13
	s_delay_alu instid0(VALU_DEP_1) | instskip(NEXT) | instid1(VALU_DEP_1)
	v_sub_nc_u16 v0, v0, v1
	v_and_b32_e32 v0, 0xff, v0
	scratch_store_b32 off, v0, off offset:112 ; 4-byte Folded Spill
	v_lshlrev_b32_e32 v0, 4, v0
	global_load_b128 v[52:55], v0, s[10:11]
	global_wb scope:SCOPE_SE
	s_wait_storecnt 0x0
	s_wait_loadcnt_dscnt 0x0
	s_barrier_signal -1
	s_barrier_wait -1
	global_inv scope:SCOPE_SE
	v_mul_f64_e32 v[0:1], v[126:127], v[86:87]
	v_mul_f64_e32 v[2:3], v[124:125], v[86:87]
	;; [unrolled: 1-line block ×12, first 2 shown]
	v_lshl_add_u32 v17, v5, 4, v15
	v_and_b32_e32 v5, 0xffff, v7
	v_and_b32_e32 v7, 0xffff, v9
	;; [unrolled: 1-line block ×3, first 2 shown]
	v_lshl_add_u32 v210, v6, 4, v15
	scratch_store_b32 off, v17, off offset:116 ; 4-byte Folded Spill
	v_mul_u32_u24_e32 v5, 26, v5
	v_mul_u32_u24_e32 v7, 26, v7
	;; [unrolled: 1-line block ×3, first 2 shown]
	s_delay_alu instid0(VALU_DEP_3) | instskip(NEXT) | instid1(VALU_DEP_3)
	v_add_nc_u32_e32 v5, v5, v16
	v_add_nc_u32_e32 v7, v7, v13
	s_delay_alu instid0(VALU_DEP_3) | instskip(NEXT) | instid1(VALU_DEP_3)
	v_add_nc_u32_e32 v4, v9, v4
	v_lshl_add_u32 v9, v5, 4, v15
	s_delay_alu instid0(VALU_DEP_3) | instskip(SKIP_1) | instid1(VALU_DEP_4)
	v_lshl_add_u32 v6, v7, 4, v15
	v_lshl_add_u32 v5, v8, 4, v15
	;; [unrolled: 1-line block ×3, first 2 shown]
	v_fma_f64 v[0:1], v[124:125], v[84:85], -v[0:1]
	v_fma_f64 v[2:3], v[126:127], v[84:85], v[2:3]
	v_fma_f64 v[112:113], v[112:113], v[76:77], -v[137:138]
	v_fma_f64 v[124:125], v[128:129], v[96:97], -v[144:145]
	v_fma_f64 v[126:127], v[130:131], v[96:97], v[146:147]
	v_fma_f64 v[132:133], v[132:133], v[80:81], -v[152:153]
	v_fma_f64 v[134:135], v[134:135], v[80:81], v[154:155]
	v_fma_f64 v[114:115], v[114:115], v[76:77], v[142:143]
	v_fma_f64 v[128:129], v[116:117], v[88:89], -v[148:149]
	v_fma_f64 v[130:131], v[118:119], v[88:89], v[150:151]
	v_mul_f64_e32 v[144:145], v[110:111], v[54:55]
	v_mul_f64_e32 v[146:147], v[108:109], v[54:55]
	v_fma_f64 v[137:138], v[120:121], v[72:73], -v[156:157]
	v_fma_f64 v[142:143], v[122:123], v[72:73], v[158:159]
	v_add_f64_e64 v[0:1], v[92:93], -v[0:1]
	v_add_f64_e64 v[2:3], v[94:95], -v[2:3]
	;; [unrolled: 1-line block ×10, first 2 shown]
	v_fma_f64 v[132:133], v[108:109], v[52:53], -v[144:145]
	v_fma_f64 v[134:135], v[110:111], v[52:53], v[146:147]
	v_add_f64_e64 v[128:129], v[68:69], -v[137:138]
	v_add_f64_e64 v[130:131], v[70:71], -v[142:143]
	v_fma_f64 v[108:109], v[92:93], 2.0, -v[0:1]
	v_fma_f64 v[110:111], v[94:95], 2.0, -v[2:3]
	v_fma_f64 v[60:61], v[60:61], 2.0, -v[112:113]
	v_fma_f64 v[100:101], v[100:101], 2.0, -v[116:117]
	v_fma_f64 v[102:103], v[102:103], 2.0, -v[118:119]
	v_fma_f64 v[104:105], v[104:105], 2.0, -v[124:125]
	v_fma_f64 v[106:107], v[106:107], 2.0, -v[126:127]
	v_fma_f64 v[62:63], v[62:63], 2.0, -v[114:115]
	v_fma_f64 v[64:65], v[64:65], 2.0, -v[120:121]
	v_fma_f64 v[66:67], v[66:67], 2.0, -v[122:123]
	v_add_f64_e64 v[92:93], v[56:57], -v[132:133]
	v_add_f64_e64 v[94:95], v[58:59], -v[134:135]
	v_fma_f64 v[68:69], v[68:69], 2.0, -v[128:129]
	v_fma_f64 v[70:71], v[70:71], 2.0, -v[130:131]
	ds_store_b128 v17, v[108:111]
	ds_store_b128 v17, v[0:3] offset:208
	ds_store_b128 v210, v[60:63]
	ds_store_b128 v210, v[112:115] offset:208
	ds_store_b128 v9, v[100:103]
	scratch_store_b32 off, v9, off offset:132 ; 4-byte Folded Spill
	ds_store_b128 v9, v[116:119] offset:208
	ds_store_b128 v6, v[64:67]
	scratch_store_b32 off, v6, off offset:128 ; 4-byte Folded Spill
	;; [unrolled: 3-line block ×4, first 2 shown]
	ds_store_b128 v4, v[128:131] offset:208
	s_and_saveexec_b32 s0, vcc_lo
	s_cbranch_execz .LBB0_5
; %bb.4:
	s_clause 0x1
	scratch_load_b32 v4, off, off
	scratch_load_b32 v5, off, off offset:112
	v_fma_f64 v[2:3], v[58:59], 2.0, -v[94:95]
	v_fma_f64 v[0:1], v[56:57], 2.0, -v[92:93]
	s_wait_loadcnt 0x0
	v_lshl_add_u32 v4, v5, 4, v4
	ds_store_b128 v4, v[0:3] offset:4992
	ds_store_b128 v4, v[92:95] offset:5200
.LBB0_5:
	s_wait_alu 0xfffe
	s_or_b32 exec_lo, exec_lo, s0
	v_mad_co_u64_u32 v[0:1], null, 0xc0, v183, s[10:11]
	scratch_store_b32 off, v183, off offset:44 ; 4-byte Folded Spill
	global_wb scope:SCOPE_SE
	s_wait_storecnt_dscnt 0x0
	s_barrier_signal -1
	s_barrier_wait -1
	global_inv scope:SCOPE_SE
	s_mov_b32 s18, 0x42a4c3d2
	s_clause 0x3
	global_load_b128 v[68:71], v[0:1], off offset:208
	global_load_b128 v[60:63], v[0:1], off offset:224
	;; [unrolled: 1-line block ×4, first 2 shown]
	ds_load_b128 v[100:103], v184 offset:416
	ds_load_b128 v[132:135], v184
	ds_load_b128 v[104:107], v184 offset:832
	ds_load_b128 v[108:111], v184 offset:1248
	s_mov_b32 s19, 0xbfea55e2
	s_mov_b32 s30, 0x4267c47c
	s_mov_b32 s24, 0x1ea71119
	s_mov_b32 s20, 0x66966769
	s_mov_b32 s10, 0x24c2f84
	s_mov_b32 s31, 0xbfddbe06
	s_mov_b32 s25, 0x3fe22d96
	s_mov_b32 s21, 0xbfefc445
	s_mov_b32 s11, 0xbfe5384d
	s_mov_b32 s28, 0xe00740e9
	s_mov_b32 s26, 0xebaa3ed8
	s_mov_b32 s16, 0xd0032e0c
	s_mov_b32 s29, 0x3fec55a7
	s_mov_b32 s27, 0x3fbedb7d
	s_mov_b32 s17, 0xbfe7f3cc
	s_mov_b32 s14, 0x2ef20147
	s_mov_b32 s0, 0x4bc48dbf
	s_mov_b32 s15, 0xbfedeba7
	s_mov_b32 s1, 0xbfcea1e5
	s_mov_b32 s22, 0xb2365da1
	s_mov_b32 s12, 0x93053d00
	s_mov_b32 s23, 0xbfd6b1d8
	s_mov_b32 s13, 0xbfef11f4
	s_mov_b32 s39, 0x3fe5384d
	s_wait_alu 0xfffe
	s_mov_b32 s38, s10
	s_mov_b32 s35, 0x3fefc445
	;; [unrolled: 1-line block ×11, first 2 shown]
	s_add_nc_u64 s[8:9], s[8:9], 0x1520
	s_wait_loadcnt_dscnt 0x303
	v_mul_f64_e32 v[2:3], v[102:103], v[70:71]
	v_mul_f64_e32 v[112:113], v[100:101], v[70:71]
	s_delay_alu instid0(VALU_DEP_2) | instskip(SKIP_3) | instid1(VALU_DEP_4)
	v_fma_f64 v[187:188], v[100:101], v[68:69], -v[2:3]
	s_wait_loadcnt_dscnt 0x201
	v_mul_f64_e32 v[2:3], v[106:107], v[62:63]
	v_mul_f64_e32 v[100:101], v[104:105], v[62:63]
	v_fma_f64 v[189:190], v[102:103], v[68:69], v[112:113]
	s_delay_alu instid0(VALU_DEP_4) | instskip(NEXT) | instid1(VALU_DEP_4)
	v_add_f64_e32 v[4:5], v[132:133], v[187:188]
	v_fma_f64 v[142:143], v[104:105], v[60:61], -v[2:3]
	s_delay_alu instid0(VALU_DEP_4) | instskip(SKIP_3) | instid1(VALU_DEP_2)
	v_fma_f64 v[144:145], v[106:107], v[60:61], v[100:101]
	s_wait_loadcnt_dscnt 0x100
	v_mul_f64_e32 v[2:3], v[110:111], v[58:59]
	v_mul_f64_e32 v[100:101], v[108:109], v[58:59]
	v_fma_f64 v[146:147], v[108:109], v[56:57], -v[2:3]
	s_delay_alu instid0(VALU_DEP_2) | instskip(SKIP_4) | instid1(VALU_DEP_1)
	v_fma_f64 v[148:149], v[110:111], v[56:57], v[100:101]
	ds_load_b128 v[100:103], v184 offset:1664
	ds_load_b128 v[108:111], v184 offset:2080
	s_wait_loadcnt_dscnt 0x1
	v_mul_f64_e32 v[2:3], v[102:103], v[66:67]
	v_fma_f64 v[150:151], v[100:101], v[64:65], -v[2:3]
	v_mul_f64_e32 v[2:3], v[100:101], v[66:67]
	s_delay_alu instid0(VALU_DEP_1)
	v_fma_f64 v[152:153], v[102:103], v[64:65], v[2:3]
	s_clause 0x1
	global_load_b128 v[104:107], v[0:1], off offset:272
	global_load_b128 v[100:103], v[0:1], off offset:288
	s_wait_loadcnt_dscnt 0x100
	v_mul_f64_e32 v[2:3], v[110:111], v[106:107]
	s_delay_alu instid0(VALU_DEP_1) | instskip(SKIP_1) | instid1(VALU_DEP_1)
	v_fma_f64 v[154:155], v[108:109], v[104:105], -v[2:3]
	v_mul_f64_e32 v[2:3], v[108:109], v[106:107]
	v_fma_f64 v[156:157], v[110:111], v[104:105], v[2:3]
	ds_load_b128 v[108:111], v184 offset:2496
	ds_load_b128 v[116:119], v184 offset:2912
	s_wait_loadcnt_dscnt 0x1
	v_mul_f64_e32 v[2:3], v[110:111], v[102:103]
	s_delay_alu instid0(VALU_DEP_1) | instskip(SKIP_1) | instid1(VALU_DEP_1)
	v_fma_f64 v[158:159], v[108:109], v[100:101], -v[2:3]
	v_mul_f64_e32 v[2:3], v[108:109], v[102:103]
	v_fma_f64 v[160:161], v[110:111], v[100:101], v[2:3]
	s_clause 0x1
	global_load_b128 v[112:115], v[0:1], off offset:304
	global_load_b128 v[108:111], v[0:1], off offset:320
	s_wait_loadcnt_dscnt 0x100
	v_mul_f64_e32 v[2:3], v[118:119], v[114:115]
	s_delay_alu instid0(VALU_DEP_1) | instskip(SKIP_1) | instid1(VALU_DEP_2)
	v_fma_f64 v[162:163], v[116:117], v[112:113], -v[2:3]
	v_mul_f64_e32 v[2:3], v[116:117], v[114:115]
	v_add_f64_e64 v[8:9], v[158:159], -v[162:163]
	s_delay_alu instid0(VALU_DEP_2)
	v_fma_f64 v[164:165], v[118:119], v[112:113], v[2:3]
	ds_load_b128 v[116:119], v184 offset:3328
	ds_load_b128 v[124:127], v184 offset:3744
	s_wait_loadcnt_dscnt 0x1
	v_mul_f64_e32 v[2:3], v[118:119], v[110:111]
	v_add_f64_e32 v[10:11], v[160:161], v[164:165]
	s_delay_alu instid0(VALU_DEP_2) | instskip(SKIP_1) | instid1(VALU_DEP_1)
	v_fma_f64 v[166:167], v[116:117], v[108:109], -v[2:3]
	v_mul_f64_e32 v[2:3], v[116:117], v[110:111]
	v_fma_f64 v[168:169], v[118:119], v[108:109], v[2:3]
	s_clause 0x1
	global_load_b128 v[116:119], v[0:1], off offset:336
	global_load_b128 v[120:123], v[0:1], off offset:352
	s_wait_loadcnt_dscnt 0x100
	v_mul_f64_e32 v[2:3], v[126:127], v[118:119]
	s_delay_alu instid0(VALU_DEP_1) | instskip(SKIP_1) | instid1(VALU_DEP_2)
	v_fma_f64 v[170:171], v[124:125], v[116:117], -v[2:3]
	v_mul_f64_e32 v[2:3], v[124:125], v[118:119]
	v_add_f64_e64 v[249:250], v[150:151], -v[170:171]
	s_delay_alu instid0(VALU_DEP_2) | instskip(SKIP_4) | instid1(VALU_DEP_1)
	v_fma_f64 v[172:173], v[126:127], v[116:117], v[2:3]
	ds_load_b128 v[124:127], v184 offset:4160
	ds_load_b128 v[136:139], v184 offset:4576
	s_wait_loadcnt_dscnt 0x1
	v_mul_f64_e32 v[2:3], v[126:127], v[122:123]
	v_fma_f64 v[174:175], v[124:125], v[120:121], -v[2:3]
	v_mul_f64_e32 v[2:3], v[124:125], v[122:123]
	s_delay_alu instid0(VALU_DEP_1)
	v_fma_f64 v[176:177], v[126:127], v[120:121], v[2:3]
	s_clause 0x1
	global_load_b128 v[124:127], v[0:1], off offset:368
	global_load_b128 v[128:131], v[0:1], off offset:384
	s_wait_loadcnt_dscnt 0x100
	v_mul_f64_e32 v[0:1], v[138:139], v[126:127]
	s_delay_alu instid0(VALU_DEP_1) | instskip(SKIP_1) | instid1(VALU_DEP_1)
	v_fma_f64 v[178:179], v[136:137], v[124:125], -v[0:1]
	v_mul_f64_e32 v[0:1], v[136:137], v[126:127]
	v_fma_f64 v[180:181], v[138:139], v[124:125], v[0:1]
	ds_load_b128 v[0:3], v184 offset:4992
	s_wait_loadcnt_dscnt 0x0
	v_mul_f64_e32 v[136:137], v[0:1], v[130:131]
	s_delay_alu instid0(VALU_DEP_1) | instskip(SKIP_1) | instid1(VALU_DEP_2)
	v_fma_f64 v[182:183], v[2:3], v[128:129], v[136:137]
	v_mul_f64_e32 v[2:3], v[2:3], v[130:131]
	v_add_f64_e32 v[221:222], v[189:190], v[182:183]
	s_delay_alu instid0(VALU_DEP_2) | instskip(SKIP_1) | instid1(VALU_DEP_2)
	v_fma_f64 v[185:186], v[0:1], v[128:129], -v[2:3]
	v_add_f64_e64 v[0:1], v[189:190], -v[182:183]
	v_add_f64_e32 v[195:196], v[187:188], v[185:186]
	s_delay_alu instid0(VALU_DEP_2)
	v_mul_f64_e32 v[136:137], s[18:19], v[0:1]
	v_mul_f64_e32 v[2:3], s[30:31], v[0:1]
	;; [unrolled: 1-line block ×6, first 2 shown]
	v_fma_f64 v[199:200], v[195:196], s[24:25], -v[136:137]
	v_fma_f64 v[201:202], v[195:196], s[24:25], v[136:137]
	v_add_f64_e64 v[136:137], v[187:188], -v[185:186]
	v_fma_f64 v[197:198], v[195:196], s[28:29], -v[2:3]
	v_fma_f64 v[2:3], v[195:196], s[28:29], v[2:3]
	v_fma_f64 v[203:204], v[195:196], s[26:27], -v[138:139]
	v_fma_f64 v[205:206], v[195:196], s[26:27], v[138:139]
	v_fma_f64 v[213:214], v[195:196], s[16:17], v[193:194]
	v_fma_f64 v[207:208], v[195:196], s[22:23], -v[191:192]
	v_fma_f64 v[191:192], v[195:196], s[22:23], v[191:192]
	v_fma_f64 v[211:212], v[195:196], s[16:17], -v[193:194]
	v_fma_f64 v[215:216], v[195:196], s[12:13], -v[0:1]
	v_fma_f64 v[0:1], v[195:196], s[12:13], v[0:1]
	v_add_f64_e32 v[253:254], v[132:133], v[199:200]
	v_add_f64_e32 v[245:246], v[132:133], v[201:202]
	v_mul_f64_e32 v[138:139], s[30:31], v[136:137]
	v_mul_f64_e32 v[219:220], s[10:11], v[136:137]
	;; [unrolled: 1-line block ×6, first 2 shown]
	v_add_f64_e32 v[241:242], v[132:133], v[203:204]
	v_add_f64_e64 v[203:204], v[144:145], -v[180:181]
	v_add_f64_e32 v[187:188], v[132:133], v[197:198]
	v_add_f64_e32 v[235:236], v[132:133], v[205:206]
	;; [unrolled: 1-line block ×3, first 2 shown]
	scratch_store_b64 off, v[4:5], off offset:136 ; 8-byte Folded Spill
	v_add_f64_e32 v[4:5], v[134:135], v[189:190]
	v_add_f64_e32 v[14:15], v[132:133], v[207:208]
	;; [unrolled: 1-line block ×4, first 2 shown]
	v_add_f64_e64 v[205:206], v[142:143], -v[178:179]
	v_add_f64_e32 v[197:198], v[144:145], v[180:181]
	v_add_f64_e32 v[211:212], v[146:147], v[174:175]
	v_fma_f64 v[223:224], v[221:222], s[28:29], v[138:139]
	v_fma_f64 v[225:226], v[221:222], s[28:29], -v[138:139]
	v_fma_f64 v[237:238], v[221:222], s[16:17], v[219:220]
	v_fma_f64 v[219:220], v[221:222], s[16:17], -v[219:220]
	v_add_f64_e32 v[138:139], v[132:133], v[2:3]
	v_add_f64_e32 v[2:3], v[132:133], v[213:214]
	v_fma_f64 v[247:248], v[221:222], s[12:13], v[136:137]
	v_fma_f64 v[227:228], v[221:222], s[24:25], v[193:194]
	v_fma_f64 v[193:194], v[221:222], s[24:25], -v[193:194]
	v_fma_f64 v[229:230], v[221:222], s[26:27], v[195:196]
	scratch_store_b64 off, v[0:1], off offset:152 ; 8-byte Folded Spill
	v_fma_f64 v[195:196], v[221:222], s[26:27], -v[195:196]
	v_fma_f64 v[233:234], v[221:222], s[22:23], v[217:218]
	v_fma_f64 v[217:218], v[221:222], s[22:23], -v[217:218]
	v_fma_f64 v[221:222], v[221:222], s[12:13], -v[136:137]
	v_add_f64_e32 v[213:214], v[148:149], v[176:177]
	v_add_f64_e32 v[189:190], v[134:135], v[223:224]
	;; [unrolled: 1-line block ×5, first 2 shown]
	scratch_store_b64 off, v[2:3], off offset:192 ; 8-byte Folded Spill
	v_add_f64_e32 v[2:3], v[134:135], v[219:220]
	v_add_f64_e32 v[251:252], v[134:135], v[227:228]
	;; [unrolled: 1-line block ×4, first 2 shown]
	v_add_f64_e64 v[227:228], v[148:149], -v[176:177]
	v_add_f64_e32 v[231:232], v[134:135], v[195:196]
	v_add_f64_e32 v[195:196], v[142:143], v[178:179]
	;; [unrolled: 1-line block ×4, first 2 shown]
	scratch_store_b64 off, v[4:5], off offset:144 ; 8-byte Folded Spill
	v_add_f64_e32 v[20:21], v[134:135], v[217:218]
	v_add_f64_e64 v[229:230], v[146:147], -v[174:175]
	v_add_f64_e32 v[233:234], v[150:151], v[170:171]
	v_mul_f64_e32 v[217:218], s[14:15], v[249:250]
	v_add_f64_e64 v[219:220], v[156:157], -v[168:169]
	v_add_f64_e64 v[221:222], v[154:155], -v[166:167]
	v_add_f64_e32 v[4:5], v[158:159], v[162:163]
	scratch_store_b64 off, v[2:3], off offset:184 ; 8-byte Folded Spill
	v_add_f64_e32 v[2:3], v[132:133], v[215:216]
	scratch_store_b64 off, v[0:1], off offset:160 ; 8-byte Folded Spill
	v_mul_f64_e32 v[0:1], s[18:19], v[203:204]
	v_mul_f64_e32 v[223:224], s[10:11], v[219:220]
	;; [unrolled: 1-line block ×3, first 2 shown]
	scratch_store_b64 off, v[2:3], off offset:176 ; 8-byte Folded Spill
	v_add_f64_e32 v[2:3], v[134:135], v[247:248]
	v_add_f64_e64 v[247:248], v[152:153], -v[172:173]
	v_fma_f64 v[132:133], v[195:196], s[24:25], -v[0:1]
	v_fma_f64 v[0:1], v[195:196], s[24:25], v[0:1]
	scratch_store_b64 off, v[2:3], off offset:168 ; 8-byte Folded Spill
	v_mul_f64_e32 v[215:216], s[14:15], v[247:248]
	v_add_f64_e32 v[132:133], v[132:133], v[187:188]
	v_mul_f64_e32 v[187:188], s[18:19], v[205:206]
	v_add_f64_e32 v[0:1], v[0:1], v[138:139]
	s_delay_alu instid0(VALU_DEP_2) | instskip(NEXT) | instid1(VALU_DEP_1)
	v_fma_f64 v[134:135], v[197:198], s[24:25], v[187:188]
	v_add_f64_e32 v[134:135], v[134:135], v[189:190]
	v_mul_f64_e32 v[189:190], s[20:21], v[227:228]
	s_delay_alu instid0(VALU_DEP_1) | instskip(NEXT) | instid1(VALU_DEP_1)
	v_fma_f64 v[191:192], v[211:212], s[26:27], -v[189:190]
	v_add_f64_e32 v[132:133], v[191:192], v[132:133]
	v_mul_f64_e32 v[191:192], s[20:21], v[229:230]
	s_delay_alu instid0(VALU_DEP_1) | instskip(NEXT) | instid1(VALU_DEP_1)
	v_fma_f64 v[199:200], v[213:214], s[26:27], v[191:192]
	v_add_f64_e32 v[134:135], v[199:200], v[134:135]
	v_fma_f64 v[199:200], v[233:234], s[22:23], -v[215:216]
	s_delay_alu instid0(VALU_DEP_1) | instskip(SKIP_1) | instid1(VALU_DEP_1)
	v_add_f64_e32 v[132:133], v[199:200], v[132:133]
	v_fma_f64 v[199:200], v[237:238], s[22:23], v[217:218]
	v_add_f64_e32 v[134:135], v[199:200], v[134:135]
	v_add_f64_e32 v[199:200], v[154:155], v[166:167]
	s_delay_alu instid0(VALU_DEP_1) | instskip(NEXT) | instid1(VALU_DEP_1)
	v_fma_f64 v[207:208], v[199:200], s[16:17], -v[223:224]
	v_add_f64_e32 v[132:133], v[207:208], v[132:133]
	v_add_f64_e32 v[207:208], v[156:157], v[168:169]
	s_delay_alu instid0(VALU_DEP_1) | instskip(NEXT) | instid1(VALU_DEP_1)
	v_fma_f64 v[201:202], v[207:208], s[16:17], v[225:226]
	v_add_f64_e32 v[134:135], v[201:202], v[134:135]
	v_add_f64_e64 v[201:202], v[160:161], -v[164:165]
	s_delay_alu instid0(VALU_DEP_1) | instskip(NEXT) | instid1(VALU_DEP_1)
	v_mul_f64_e32 v[6:7], s[0:1], v[201:202]
	v_fma_f64 v[193:194], v[4:5], s[12:13], -v[6:7]
	v_fma_f64 v[6:7], v[4:5], s[12:13], v[6:7]
	s_delay_alu instid0(VALU_DEP_2) | instskip(SKIP_1) | instid1(VALU_DEP_1)
	v_add_f64_e32 v[132:133], v[193:194], v[132:133]
	v_mul_f64_e32 v[193:194], s[0:1], v[8:9]
	v_fma_f64 v[2:3], v[10:11], s[12:13], v[193:194]
	v_fma_f64 v[138:139], v[10:11], s[12:13], -v[193:194]
	v_mul_f64_e32 v[193:194], s[0:1], v[229:230]
	s_delay_alu instid0(VALU_DEP_3) | instskip(SKIP_1) | instid1(VALU_DEP_1)
	v_add_f64_e32 v[134:135], v[2:3], v[134:135]
	v_fma_f64 v[2:3], v[197:198], s[24:25], -v[187:188]
	v_add_f64_e32 v[2:3], v[2:3], v[136:137]
	v_fma_f64 v[136:137], v[211:212], s[26:27], v[189:190]
	s_delay_alu instid0(VALU_DEP_1) | instskip(SKIP_2) | instid1(VALU_DEP_2)
	v_add_f64_e32 v[0:1], v[136:137], v[0:1]
	v_fma_f64 v[136:137], v[213:214], s[26:27], -v[191:192]
	v_mul_f64_e32 v[191:192], s[0:1], v[227:228]
	v_add_f64_e32 v[2:3], v[136:137], v[2:3]
	v_fma_f64 v[136:137], v[233:234], s[22:23], v[215:216]
	s_delay_alu instid0(VALU_DEP_3) | instskip(SKIP_3) | instid1(VALU_DEP_4)
	v_fma_f64 v[189:190], v[211:212], s[12:13], -v[191:192]
	s_wait_alu 0xfffe
	v_mul_f64_e32 v[215:216], s[38:39], v[247:248]
	v_fma_f64 v[191:192], v[211:212], s[12:13], v[191:192]
	v_add_f64_e32 v[0:1], v[136:137], v[0:1]
	v_fma_f64 v[136:137], v[237:238], s[22:23], -v[217:218]
	v_mul_f64_e32 v[217:218], s[38:39], v[249:250]
	s_delay_alu instid0(VALU_DEP_2) | instskip(SKIP_2) | instid1(VALU_DEP_2)
	v_add_f64_e32 v[2:3], v[136:137], v[2:3]
	v_fma_f64 v[136:137], v[199:200], s[16:17], v[223:224]
	v_mul_f64_e32 v[223:224], s[34:35], v[219:220]
	v_add_f64_e32 v[0:1], v[136:137], v[0:1]
	v_fma_f64 v[136:137], v[207:208], s[16:17], -v[225:226]
	v_mul_f64_e32 v[225:226], s[34:35], v[221:222]
	s_delay_alu instid0(VALU_DEP_2) | instskip(NEXT) | instid1(VALU_DEP_4)
	v_add_f64_e32 v[2:3], v[136:137], v[2:3]
	v_add_f64_e32 v[136:137], v[6:7], v[0:1]
	v_mul_f64_e32 v[0:1], s[14:15], v[203:204]
	v_mul_f64_e32 v[6:7], s[14:15], v[205:206]
	s_delay_alu instid0(VALU_DEP_4) | instskip(NEXT) | instid1(VALU_DEP_3)
	v_add_f64_e32 v[138:139], v[138:139], v[2:3]
	v_fma_f64 v[2:3], v[195:196], s[22:23], -v[0:1]
	s_delay_alu instid0(VALU_DEP_3) | instskip(SKIP_2) | instid1(VALU_DEP_4)
	v_fma_f64 v[187:188], v[197:198], s[22:23], v[6:7]
	v_fma_f64 v[0:1], v[195:196], s[22:23], v[0:1]
	v_fma_f64 v[6:7], v[197:198], s[22:23], -v[6:7]
	v_add_f64_e32 v[2:3], v[2:3], v[253:254]
	s_delay_alu instid0(VALU_DEP_4) | instskip(NEXT) | instid1(VALU_DEP_4)
	v_add_f64_e32 v[187:188], v[187:188], v[251:252]
	v_add_f64_e32 v[0:1], v[0:1], v[245:246]
	s_delay_alu instid0(VALU_DEP_4)
	v_add_f64_e32 v[6:7], v[6:7], v[243:244]
	v_mul_f64_e32 v[251:252], s[36:37], v[201:202]
	v_mul_f64_e32 v[243:244], s[36:37], v[249:250]
	;; [unrolled: 1-line block ×3, first 2 shown]
	v_add_f64_e32 v[2:3], v[189:190], v[2:3]
	v_fma_f64 v[189:190], v[213:214], s[12:13], v[193:194]
	v_add_f64_e32 v[0:1], v[191:192], v[0:1]
	v_fma_f64 v[191:192], v[213:214], s[12:13], -v[193:194]
	v_mul_f64_e32 v[193:194], s[40:41], v[227:228]
	s_delay_alu instid0(VALU_DEP_4) | instskip(SKIP_1) | instid1(VALU_DEP_4)
	v_add_f64_e32 v[187:188], v[189:190], v[187:188]
	v_fma_f64 v[189:190], v[233:234], s[16:17], -v[215:216]
	v_add_f64_e32 v[6:7], v[191:192], v[6:7]
	v_fma_f64 v[191:192], v[233:234], s[16:17], v[215:216]
	s_delay_alu instid0(VALU_DEP_3) | instskip(SKIP_1) | instid1(VALU_DEP_3)
	v_add_f64_e32 v[2:3], v[189:190], v[2:3]
	v_fma_f64 v[189:190], v[237:238], s[16:17], v[217:218]
	v_add_f64_e32 v[0:1], v[191:192], v[0:1]
	v_fma_f64 v[191:192], v[237:238], s[16:17], -v[217:218]
	s_delay_alu instid0(VALU_DEP_3) | instskip(SKIP_1) | instid1(VALU_DEP_3)
	v_add_f64_e32 v[187:188], v[189:190], v[187:188]
	v_fma_f64 v[189:190], v[199:200], s[26:27], -v[223:224]
	v_add_f64_e32 v[6:7], v[191:192], v[6:7]
	v_fma_f64 v[191:192], v[199:200], s[26:27], v[223:224]
	v_fma_f64 v[223:224], v[211:212], s[22:23], -v[193:194]
	s_delay_alu instid0(VALU_DEP_4) | instskip(SKIP_1) | instid1(VALU_DEP_4)
	v_add_f64_e32 v[2:3], v[189:190], v[2:3]
	v_fma_f64 v[189:190], v[207:208], s[26:27], v[225:226]
	v_add_f64_e32 v[0:1], v[191:192], v[0:1]
	v_fma_f64 v[191:192], v[207:208], s[26:27], -v[225:226]
	s_delay_alu instid0(VALU_DEP_3) | instskip(SKIP_1) | instid1(VALU_DEP_3)
	v_add_f64_e32 v[189:190], v[189:190], v[187:188]
	v_fma_f64 v[187:188], v[4:5], s[28:29], -v[251:252]
	v_add_f64_e32 v[6:7], v[191:192], v[6:7]
	v_fma_f64 v[191:192], v[4:5], s[28:29], v[251:252]
	v_mul_f64_e32 v[251:252], s[18:19], v[221:222]
	s_delay_alu instid0(VALU_DEP_4) | instskip(SKIP_1) | instid1(VALU_DEP_4)
	v_add_f64_e32 v[187:188], v[187:188], v[2:3]
	v_mul_f64_e32 v[2:3], s[36:37], v[8:9]
	v_add_f64_e32 v[215:216], v[191:192], v[0:1]
	v_mul_f64_e32 v[0:1], s[0:1], v[203:204]
	s_delay_alu instid0(VALU_DEP_3) | instskip(SKIP_1) | instid1(VALU_DEP_2)
	v_fma_f64 v[253:254], v[10:11], s[28:29], v[2:3]
	v_fma_f64 v[2:3], v[10:11], s[28:29], -v[2:3]
	v_add_f64_e32 v[189:190], v[253:254], v[189:190]
	s_delay_alu instid0(VALU_DEP_2) | instskip(SKIP_4) | instid1(VALU_DEP_4)
	v_add_f64_e32 v[217:218], v[2:3], v[6:7]
	v_fma_f64 v[2:3], v[195:196], s[12:13], -v[0:1]
	v_mul_f64_e32 v[6:7], s[0:1], v[205:206]
	v_mul_f64_e32 v[253:254], s[10:11], v[201:202]
	v_fma_f64 v[0:1], v[195:196], s[12:13], v[0:1]
	v_add_f64_e32 v[2:3], v[2:3], v[241:242]
	s_delay_alu instid0(VALU_DEP_4) | instskip(SKIP_1) | instid1(VALU_DEP_4)
	v_fma_f64 v[191:192], v[197:198], s[12:13], v[6:7]
	v_fma_f64 v[6:7], v[197:198], s[12:13], -v[6:7]
	v_add_f64_e32 v[0:1], v[0:1], v[235:236]
	s_delay_alu instid0(VALU_DEP_4) | instskip(SKIP_3) | instid1(VALU_DEP_3)
	v_add_f64_e32 v[2:3], v[223:224], v[2:3]
	v_mul_f64_e32 v[223:224], s[40:41], v[229:230]
	v_add_f64_e32 v[191:192], v[191:192], v[239:240]
	v_add_f64_e32 v[6:7], v[6:7], v[231:232]
	v_fma_f64 v[225:226], v[213:214], s[22:23], v[223:224]
	s_delay_alu instid0(VALU_DEP_1) | instskip(SKIP_1) | instid1(VALU_DEP_1)
	v_add_f64_e32 v[191:192], v[225:226], v[191:192]
	v_mul_f64_e32 v[225:226], s[36:37], v[247:248]
	v_fma_f64 v[239:240], v[233:234], s[28:29], -v[225:226]
	s_delay_alu instid0(VALU_DEP_1) | instskip(SKIP_1) | instid1(VALU_DEP_1)
	v_add_f64_e32 v[2:3], v[239:240], v[2:3]
	v_fma_f64 v[239:240], v[237:238], s[28:29], v[243:244]
	v_add_f64_e32 v[191:192], v[239:240], v[191:192]
	v_fma_f64 v[239:240], v[199:200], s[24:25], -v[245:246]
	s_delay_alu instid0(VALU_DEP_1) | instskip(SKIP_1) | instid1(VALU_DEP_1)
	v_add_f64_e32 v[2:3], v[239:240], v[2:3]
	v_fma_f64 v[239:240], v[207:208], s[24:25], v[251:252]
	v_add_f64_e32 v[191:192], v[239:240], v[191:192]
	v_fma_f64 v[239:240], v[4:5], s[16:17], -v[253:254]
	s_delay_alu instid0(VALU_DEP_1) | instskip(SKIP_1) | instid1(VALU_DEP_1)
	v_add_f64_e32 v[239:240], v[239:240], v[2:3]
	v_mul_f64_e32 v[2:3], s[10:11], v[8:9]
	v_fma_f64 v[241:242], v[10:11], s[16:17], v[2:3]
	v_fma_f64 v[2:3], v[10:11], s[16:17], -v[2:3]
	s_delay_alu instid0(VALU_DEP_2) | instskip(SKIP_2) | instid1(VALU_DEP_2)
	v_add_f64_e32 v[241:242], v[241:242], v[191:192]
	v_fma_f64 v[191:192], v[211:212], s[22:23], v[193:194]
	v_mul_f64_e32 v[193:194], s[36:37], v[227:228]
	v_add_f64_e32 v[0:1], v[191:192], v[0:1]
	v_fma_f64 v[191:192], v[213:214], s[22:23], -v[223:224]
	s_delay_alu instid0(VALU_DEP_3) | instskip(NEXT) | instid1(VALU_DEP_2)
	v_fma_f64 v[223:224], v[211:212], s[28:29], -v[193:194]
	v_add_f64_e32 v[6:7], v[191:192], v[6:7]
	v_fma_f64 v[191:192], v[233:234], s[28:29], v[225:226]
	s_delay_alu instid0(VALU_DEP_1) | instskip(SKIP_1) | instid1(VALU_DEP_1)
	v_add_f64_e32 v[0:1], v[191:192], v[0:1]
	v_fma_f64 v[191:192], v[237:238], s[28:29], -v[243:244]
	v_add_f64_e32 v[6:7], v[191:192], v[6:7]
	v_fma_f64 v[191:192], v[199:200], s[24:25], v[245:246]
	s_delay_alu instid0(VALU_DEP_1) | instskip(SKIP_1) | instid1(VALU_DEP_1)
	v_add_f64_e32 v[0:1], v[191:192], v[0:1]
	v_fma_f64 v[191:192], v[207:208], s[24:25], -v[251:252]
	v_add_f64_e32 v[6:7], v[191:192], v[6:7]
	v_fma_f64 v[191:192], v[4:5], s[16:17], v[253:254]
	s_delay_alu instid0(VALU_DEP_2) | instskip(SKIP_1) | instid1(VALU_DEP_3)
	v_add_f64_e32 v[245:246], v[2:3], v[6:7]
	v_mul_f64_e32 v[6:7], s[38:39], v[203:204]
	v_add_f64_e32 v[243:244], v[191:192], v[0:1]
	v_mul_f64_e32 v[191:192], s[38:39], v[205:206]
	s_delay_alu instid0(VALU_DEP_3) | instskip(SKIP_1) | instid1(VALU_DEP_3)
	v_fma_f64 v[0:1], v[195:196], s[16:17], -v[6:7]
	v_fma_f64 v[6:7], v[195:196], s[16:17], v[6:7]
	v_fma_f64 v[2:3], v[197:198], s[16:17], v[191:192]
	s_delay_alu instid0(VALU_DEP_3) | instskip(NEXT) | instid1(VALU_DEP_3)
	v_add_f64_e32 v[0:1], v[0:1], v[14:15]
	v_add_f64_e32 v[6:7], v[6:7], v[22:23]
	s_delay_alu instid0(VALU_DEP_3) | instskip(NEXT) | instid1(VALU_DEP_3)
	v_add_f64_e32 v[2:3], v[2:3], v[12:13]
	v_add_f64_e32 v[0:1], v[223:224], v[0:1]
	v_mul_f64_e32 v[223:224], s[36:37], v[229:230]
	s_delay_alu instid0(VALU_DEP_1) | instskip(NEXT) | instid1(VALU_DEP_1)
	v_fma_f64 v[225:226], v[213:214], s[28:29], v[223:224]
	v_add_f64_e32 v[2:3], v[225:226], v[2:3]
	v_mul_f64_e32 v[225:226], s[20:21], v[247:248]
	s_delay_alu instid0(VALU_DEP_1) | instskip(NEXT) | instid1(VALU_DEP_1)
	v_fma_f64 v[231:232], v[233:234], s[26:27], -v[225:226]
	v_add_f64_e32 v[0:1], v[231:232], v[0:1]
	v_mul_f64_e32 v[231:232], s[20:21], v[249:250]
	s_delay_alu instid0(VALU_DEP_1) | instskip(NEXT) | instid1(VALU_DEP_1)
	v_fma_f64 v[235:236], v[237:238], s[26:27], v[231:232]
	v_add_f64_e32 v[2:3], v[235:236], v[2:3]
	v_mul_f64_e32 v[235:236], s[44:45], v[219:220]
	s_delay_alu instid0(VALU_DEP_1) | instskip(NEXT) | instid1(VALU_DEP_1)
	v_fma_f64 v[251:252], v[199:200], s[12:13], -v[235:236]
	;; [unrolled: 8-line block ×3, first 2 shown]
	v_add_f64_e32 v[0:1], v[12:13], v[0:1]
	v_mul_f64_e32 v[12:13], s[42:43], v[8:9]
	s_delay_alu instid0(VALU_DEP_1) | instskip(SKIP_1) | instid1(VALU_DEP_2)
	v_fma_f64 v[14:15], v[10:11], s[24:25], v[12:13]
	v_fma_f64 v[12:13], v[10:11], s[24:25], -v[12:13]
	v_add_f64_e32 v[2:3], v[14:15], v[2:3]
	v_fma_f64 v[14:15], v[197:198], s[16:17], -v[191:192]
	v_fma_f64 v[191:192], v[211:212], s[28:29], v[193:194]
	s_delay_alu instid0(VALU_DEP_2) | instskip(NEXT) | instid1(VALU_DEP_2)
	v_add_f64_e32 v[14:15], v[14:15], v[20:21]
	v_add_f64_e32 v[6:7], v[191:192], v[6:7]
	v_fma_f64 v[191:192], v[213:214], s[28:29], -v[223:224]
	v_mul_f64_e32 v[20:21], s[36:37], v[221:222]
	v_mul_f64_e32 v[221:222], s[14:15], v[221:222]
	s_delay_alu instid0(VALU_DEP_3) | instskip(SKIP_3) | instid1(VALU_DEP_3)
	v_add_f64_e32 v[14:15], v[191:192], v[14:15]
	v_fma_f64 v[191:192], v[233:234], s[26:27], v[225:226]
	v_mul_f64_e32 v[225:226], s[18:19], v[227:228]
	v_fma_f64 v[22:23], v[207:208], s[28:29], v[20:21]
	v_add_f64_e32 v[6:7], v[191:192], v[6:7]
	v_fma_f64 v[191:192], v[237:238], s[26:27], -v[231:232]
	s_delay_alu instid0(VALU_DEP_4) | instskip(NEXT) | instid1(VALU_DEP_2)
	v_fma_f64 v[231:232], v[211:212], s[24:25], -v[225:226]
	v_add_f64_e32 v[14:15], v[191:192], v[14:15]
	v_fma_f64 v[191:192], v[199:200], s[12:13], v[235:236]
	s_delay_alu instid0(VALU_DEP_1) | instskip(SKIP_1) | instid1(VALU_DEP_1)
	v_add_f64_e32 v[6:7], v[191:192], v[6:7]
	v_fma_f64 v[191:192], v[207:208], s[12:13], -v[251:252]
	v_add_f64_e32 v[14:15], v[191:192], v[14:15]
	v_fma_f64 v[191:192], v[4:5], s[24:25], v[253:254]
	s_delay_alu instid0(VALU_DEP_2) | instskip(NEXT) | instid1(VALU_DEP_2)
	v_add_f64_e32 v[193:194], v[12:13], v[14:15]
	v_add_f64_e32 v[191:192], v[191:192], v[6:7]
	v_mul_f64_e32 v[6:7], s[34:35], v[203:204]
	v_mul_f64_e32 v[14:15], s[34:35], v[205:206]
	s_delay_alu instid0(VALU_DEP_2) | instskip(NEXT) | instid1(VALU_DEP_2)
	v_fma_f64 v[12:13], v[195:196], s[26:27], -v[6:7]
	v_fma_f64 v[223:224], v[197:198], s[26:27], v[14:15]
	v_fma_f64 v[6:7], v[195:196], s[26:27], v[6:7]
	v_fma_f64 v[14:15], v[197:198], s[26:27], -v[14:15]
	s_delay_alu instid0(VALU_DEP_4) | instskip(NEXT) | instid1(VALU_DEP_4)
	v_add_f64_e32 v[12:13], v[12:13], v[18:19]
	v_add_f64_e32 v[223:224], v[223:224], v[16:17]
	v_mul_f64_e32 v[16:17], s[44:45], v[249:250]
	s_delay_alu instid0(VALU_DEP_3) | instskip(SKIP_1) | instid1(VALU_DEP_3)
	v_add_f64_e32 v[12:13], v[231:232], v[12:13]
	v_mul_f64_e32 v[231:232], s[18:19], v[229:230]
	v_fma_f64 v[18:19], v[237:238], s[12:13], v[16:17]
	v_fma_f64 v[16:17], v[237:238], s[12:13], -v[16:17]
	s_delay_alu instid0(VALU_DEP_3) | instskip(NEXT) | instid1(VALU_DEP_1)
	v_fma_f64 v[235:236], v[213:214], s[24:25], v[231:232]
	v_add_f64_e32 v[223:224], v[235:236], v[223:224]
	v_mul_f64_e32 v[235:236], s[44:45], v[247:248]
	s_delay_alu instid0(VALU_DEP_2) | instskip(NEXT) | instid1(VALU_DEP_2)
	v_add_f64_e32 v[18:19], v[18:19], v[223:224]
	v_fma_f64 v[251:252], v[233:234], s[12:13], -v[235:236]
	v_mul_f64_e32 v[223:224], s[36:37], v[219:220]
	v_mul_f64_e32 v[219:220], s[14:15], v[219:220]
	s_delay_alu instid0(VALU_DEP_4) | instskip(NEXT) | instid1(VALU_DEP_4)
	v_add_f64_e32 v[18:19], v[22:23], v[18:19]
	v_add_f64_e32 v[12:13], v[251:252], v[12:13]
	s_delay_alu instid0(VALU_DEP_4) | instskip(SKIP_1) | instid1(VALU_DEP_2)
	v_fma_f64 v[251:252], v[199:200], s[28:29], -v[223:224]
	v_mul_f64_e32 v[22:23], s[14:15], v[201:202]
	v_add_f64_e32 v[12:13], v[251:252], v[12:13]
	s_delay_alu instid0(VALU_DEP_2) | instskip(NEXT) | instid1(VALU_DEP_1)
	v_fma_f64 v[251:252], v[4:5], s[22:23], -v[22:23]
	v_add_f64_e32 v[251:252], v[251:252], v[12:13]
	v_mul_f64_e32 v[12:13], s[14:15], v[8:9]
	v_mul_f64_e32 v[8:9], s[34:35], v[8:9]
	s_delay_alu instid0(VALU_DEP_2) | instskip(SKIP_1) | instid1(VALU_DEP_2)
	v_fma_f64 v[253:254], v[10:11], s[22:23], v[12:13]
	v_fma_f64 v[12:13], v[10:11], s[22:23], -v[12:13]
	v_add_f64_e32 v[253:254], v[253:254], v[18:19]
	scratch_load_b64 v[18:19], off, off offset:192 th:TH_LOAD_LU ; 8-byte Folded Reload
	s_wait_loadcnt 0x0
	v_add_f64_e32 v[6:7], v[6:7], v[18:19]
	scratch_load_b64 v[18:19], off, off offset:184 th:TH_LOAD_LU ; 8-byte Folded Reload
	s_wait_loadcnt 0x0
	v_add_f64_e32 v[14:15], v[14:15], v[18:19]
	v_fma_f64 v[18:19], v[211:212], s[24:25], v[225:226]
	s_delay_alu instid0(VALU_DEP_1) | instskip(SKIP_1) | instid1(VALU_DEP_1)
	v_add_f64_e32 v[6:7], v[18:19], v[6:7]
	v_fma_f64 v[18:19], v[213:214], s[24:25], -v[231:232]
	v_add_f64_e32 v[14:15], v[18:19], v[14:15]
	v_fma_f64 v[18:19], v[233:234], s[12:13], v[235:236]
	s_delay_alu instid0(VALU_DEP_2) | instskip(NEXT) | instid1(VALU_DEP_2)
	v_add_f64_e32 v[14:15], v[16:17], v[14:15]
	v_add_f64_e32 v[6:7], v[18:19], v[6:7]
	v_fma_f64 v[16:17], v[199:200], s[28:29], v[223:224]
	scratch_load_b64 v[18:19], off, off offset:168 th:TH_LOAD_LU ; 8-byte Folded Reload
	v_add_f64_e32 v[6:7], v[16:17], v[6:7]
	v_fma_f64 v[16:17], v[207:208], s[28:29], -v[20:21]
	s_delay_alu instid0(VALU_DEP_1) | instskip(SKIP_1) | instid1(VALU_DEP_2)
	v_add_f64_e32 v[14:15], v[16:17], v[14:15]
	v_fma_f64 v[16:17], v[4:5], s[22:23], v[22:23]
	v_add_f64_e32 v[225:226], v[12:13], v[14:15]
	scratch_load_b64 v[14:15], off, off offset:176 th:TH_LOAD_LU ; 8-byte Folded Reload
	v_add_f64_e32 v[223:224], v[16:17], v[6:7]
	v_mul_f64_e32 v[6:7], s[36:37], v[203:204]
	s_delay_alu instid0(VALU_DEP_1) | instskip(SKIP_2) | instid1(VALU_DEP_2)
	v_fma_f64 v[12:13], v[195:196], s[28:29], -v[6:7]
	v_fma_f64 v[6:7], v[195:196], s[28:29], v[6:7]
	s_wait_loadcnt 0x0
	v_add_f64_e32 v[12:13], v[12:13], v[14:15]
	v_mul_f64_e32 v[14:15], s[36:37], v[205:206]
	v_mul_f64_e32 v[205:206], s[42:43], v[249:250]
	s_delay_alu instid0(VALU_DEP_2) | instskip(NEXT) | instid1(VALU_DEP_1)
	v_fma_f64 v[16:17], v[197:198], s[28:29], v[14:15]
	v_add_f64_e32 v[16:17], v[16:17], v[18:19]
	v_mul_f64_e32 v[18:19], s[10:11], v[227:228]
	v_mul_f64_e32 v[227:228], s[34:35], v[201:202]
	s_delay_alu instid0(VALU_DEP_2) | instskip(NEXT) | instid1(VALU_DEP_2)
	v_fma_f64 v[20:21], v[211:212], s[16:17], -v[18:19]
	v_fma_f64 v[201:202], v[4:5], s[26:27], -v[227:228]
	v_fma_f64 v[4:5], v[4:5], s[26:27], v[227:228]
	s_delay_alu instid0(VALU_DEP_3) | instskip(SKIP_1) | instid1(VALU_DEP_1)
	v_add_f64_e32 v[12:13], v[20:21], v[12:13]
	v_mul_f64_e32 v[20:21], s[10:11], v[229:230]
	v_fma_f64 v[22:23], v[213:214], s[16:17], v[20:21]
	s_delay_alu instid0(VALU_DEP_1) | instskip(SKIP_1) | instid1(VALU_DEP_1)
	v_add_f64_e32 v[16:17], v[22:23], v[16:17]
	v_mul_f64_e32 v[22:23], s[42:43], v[247:248]
	v_fma_f64 v[203:204], v[233:234], s[24:25], -v[22:23]
	s_delay_alu instid0(VALU_DEP_1) | instskip(SKIP_1) | instid1(VALU_DEP_1)
	v_add_f64_e32 v[12:13], v[203:204], v[12:13]
	v_fma_f64 v[203:204], v[237:238], s[24:25], v[205:206]
	v_add_f64_e32 v[16:17], v[203:204], v[16:17]
	v_fma_f64 v[203:204], v[199:200], s[22:23], -v[219:220]
	s_delay_alu instid0(VALU_DEP_1) | instskip(SKIP_1) | instid1(VALU_DEP_2)
	v_add_f64_e32 v[12:13], v[203:204], v[12:13]
	v_fma_f64 v[203:204], v[207:208], s[22:23], v[221:222]
	v_add_f64_e32 v[201:202], v[201:202], v[12:13]
	s_delay_alu instid0(VALU_DEP_2) | instskip(SKIP_2) | instid1(VALU_DEP_2)
	v_add_f64_e32 v[16:17], v[203:204], v[16:17]
	v_fma_f64 v[12:13], v[10:11], s[26:27], v[8:9]
	v_fma_f64 v[8:9], v[10:11], s[26:27], -v[8:9]
	v_add_f64_e32 v[203:204], v[12:13], v[16:17]
	v_fma_f64 v[12:13], v[197:198], s[28:29], -v[14:15]
	v_fma_f64 v[14:15], v[211:212], s[16:17], v[18:19]
	scratch_load_b64 v[18:19], off, off offset:152 th:TH_LOAD_LU ; 8-byte Folded Reload
	v_fma_f64 v[16:17], v[213:214], s[16:17], -v[20:21]
	v_fma_f64 v[20:21], v[237:238], s[24:25], -v[205:206]
	s_wait_loadcnt 0x0
	v_add_f64_e32 v[6:7], v[6:7], v[18:19]
	scratch_load_b64 v[18:19], off, off offset:160 th:TH_LOAD_LU ; 8-byte Folded Reload
	v_add_f64_e32 v[6:7], v[14:15], v[6:7]
	v_fma_f64 v[14:15], v[199:200], s[22:23], v[219:220]
	s_wait_loadcnt 0x0
	v_add_f64_e32 v[12:13], v[12:13], v[18:19]
	v_fma_f64 v[18:19], v[233:234], s[24:25], v[22:23]
	s_delay_alu instid0(VALU_DEP_2) | instskip(NEXT) | instid1(VALU_DEP_2)
	v_add_f64_e32 v[12:13], v[16:17], v[12:13]
	v_add_f64_e32 v[6:7], v[18:19], v[6:7]
	v_fma_f64 v[16:17], v[207:208], s[22:23], -v[221:222]
	s_delay_alu instid0(VALU_DEP_3) | instskip(NEXT) | instid1(VALU_DEP_3)
	v_add_f64_e32 v[12:13], v[20:21], v[12:13]
	v_add_f64_e32 v[6:7], v[14:15], v[6:7]
	s_delay_alu instid0(VALU_DEP_2) | instskip(NEXT) | instid1(VALU_DEP_2)
	v_add_f64_e32 v[10:11], v[16:17], v[12:13]
	v_add_f64_e32 v[195:196], v[4:5], v[6:7]
	s_clause 0x1
	scratch_load_b64 v[4:5], off, off offset:136 th:TH_LOAD_LU
	scratch_load_b64 v[6:7], off, off offset:144 th:TH_LOAD_LU
	v_add_f64_e32 v[197:198], v[8:9], v[10:11]
	s_wait_loadcnt 0x1
	v_add_f64_e32 v[4:5], v[4:5], v[142:143]
	s_wait_loadcnt 0x0
	v_add_f64_e32 v[6:7], v[6:7], v[144:145]
	s_delay_alu instid0(VALU_DEP_2) | instskip(NEXT) | instid1(VALU_DEP_2)
	v_add_f64_e32 v[4:5], v[4:5], v[146:147]
	v_add_f64_e32 v[6:7], v[6:7], v[148:149]
	s_delay_alu instid0(VALU_DEP_2) | instskip(NEXT) | instid1(VALU_DEP_2)
	v_add_f64_e32 v[4:5], v[4:5], v[150:151]
	;; [unrolled: 3-line block ×10, first 2 shown]
	v_add_f64_e32 v[144:145], v[6:7], v[182:183]
	ds_store_b128 v184, v[187:190] offset:832
	ds_store_b128 v184, v[239:242] offset:1248
	;; [unrolled: 1-line block ×12, first 2 shown]
	ds_store_b128 v184, v[142:145]
	global_wb scope:SCOPE_SE
	s_wait_storecnt_dscnt 0x0
	s_barrier_signal -1
	s_barrier_wait -1
	global_inv scope:SCOPE_SE
	global_load_b128 v[0:3], v[140:141], off offset:5408
	ds_load_b128 v[132:135], v184
	ds_load_b128 v[136:139], v184 offset:416
	s_wait_loadcnt_dscnt 0x1
	v_mul_f64_e32 v[4:5], v[134:135], v[2:3]
	v_mul_f64_e32 v[2:3], v[132:133], v[2:3]
	s_delay_alu instid0(VALU_DEP_2) | instskip(NEXT) | instid1(VALU_DEP_2)
	v_fma_f64 v[132:133], v[132:133], v[0:1], -v[4:5]
	v_fma_f64 v[134:135], v[134:135], v[0:1], v[2:3]
	s_clause 0x1
	global_load_b128 v[0:3], v255, s[8:9] offset:416
	global_load_b128 v[140:143], v255, s[8:9] offset:832
	s_wait_loadcnt_dscnt 0x100
	v_mul_f64_e32 v[4:5], v[138:139], v[2:3]
	v_mul_f64_e32 v[2:3], v[136:137], v[2:3]
	s_delay_alu instid0(VALU_DEP_2) | instskip(NEXT) | instid1(VALU_DEP_2)
	v_fma_f64 v[136:137], v[136:137], v[0:1], -v[4:5]
	v_fma_f64 v[138:139], v[138:139], v[0:1], v[2:3]
	ds_load_b128 v[0:3], v184 offset:832
	ds_load_b128 v[144:147], v184 offset:1248
	s_wait_loadcnt_dscnt 0x1
	v_mul_f64_e32 v[4:5], v[2:3], v[142:143]
	v_mul_f64_e32 v[6:7], v[0:1], v[142:143]
	s_delay_alu instid0(VALU_DEP_2) | instskip(NEXT) | instid1(VALU_DEP_2)
	v_fma_f64 v[0:1], v[0:1], v[140:141], -v[4:5]
	v_fma_f64 v[2:3], v[2:3], v[140:141], v[6:7]
	s_clause 0x1
	global_load_b128 v[140:143], v255, s[8:9] offset:1248
	global_load_b128 v[148:151], v255, s[8:9] offset:1664
	ds_load_b128 v[152:155], v184 offset:1664
	ds_load_b128 v[156:159], v184 offset:2080
	s_wait_loadcnt_dscnt 0x102
	v_mul_f64_e32 v[4:5], v[146:147], v[142:143]
	v_mul_f64_e32 v[6:7], v[144:145], v[142:143]
	s_delay_alu instid0(VALU_DEP_2) | instskip(SKIP_2) | instid1(VALU_DEP_3)
	v_fma_f64 v[142:143], v[144:145], v[140:141], -v[4:5]
	s_wait_loadcnt_dscnt 0x1
	v_mul_f64_e32 v[4:5], v[154:155], v[150:151]
	v_fma_f64 v[144:145], v[146:147], v[140:141], v[6:7]
	v_mul_f64_e32 v[6:7], v[152:153], v[150:151]
	s_delay_alu instid0(VALU_DEP_3)
	v_fma_f64 v[146:147], v[152:153], v[148:149], -v[4:5]
	s_clause 0x1
	global_load_b128 v[150:153], v255, s[8:9] offset:2080
	global_load_b128 v[160:163], v255, s[8:9] offset:2496
	v_fma_f64 v[148:149], v[154:155], v[148:149], v[6:7]
	s_wait_loadcnt_dscnt 0x100
	v_mul_f64_e32 v[4:5], v[158:159], v[152:153]
	v_mul_f64_e32 v[6:7], v[156:157], v[152:153]
	s_delay_alu instid0(VALU_DEP_2) | instskip(NEXT) | instid1(VALU_DEP_2)
	v_fma_f64 v[152:153], v[156:157], v[150:151], -v[4:5]
	v_fma_f64 v[154:155], v[158:159], v[150:151], v[6:7]
	ds_load_b128 v[156:159], v184 offset:2496
	ds_load_b128 v[164:167], v184 offset:2912
	s_wait_loadcnt_dscnt 0x1
	v_mul_f64_e32 v[4:5], v[158:159], v[162:163]
	v_mul_f64_e32 v[6:7], v[156:157], v[162:163]
	s_delay_alu instid0(VALU_DEP_2) | instskip(NEXT) | instid1(VALU_DEP_2)
	v_fma_f64 v[156:157], v[156:157], v[160:161], -v[4:5]
	v_fma_f64 v[158:159], v[158:159], v[160:161], v[6:7]
	s_clause 0x1
	global_load_b128 v[160:163], v255, s[8:9] offset:2912
	global_load_b128 v[168:171], v255, s[8:9] offset:3328
	ds_load_b128 v[172:175], v184 offset:3328
	ds_load_b128 v[176:179], v184 offset:3744
	s_wait_loadcnt_dscnt 0x102
	v_mul_f64_e32 v[4:5], v[166:167], v[162:163]
	v_mul_f64_e32 v[6:7], v[164:165], v[162:163]
	s_delay_alu instid0(VALU_DEP_2) | instskip(SKIP_2) | instid1(VALU_DEP_3)
	v_fma_f64 v[162:163], v[164:165], v[160:161], -v[4:5]
	s_wait_loadcnt_dscnt 0x1
	v_mul_f64_e32 v[4:5], v[174:175], v[170:171]
	v_fma_f64 v[164:165], v[166:167], v[160:161], v[6:7]
	v_mul_f64_e32 v[6:7], v[172:173], v[170:171]
	s_delay_alu instid0(VALU_DEP_3)
	v_fma_f64 v[166:167], v[172:173], v[168:169], -v[4:5]
	s_clause 0x1
	global_load_b128 v[170:173], v255, s[8:9] offset:3744
	global_load_b128 v[180:183], v255, s[8:9] offset:4160
	v_fma_f64 v[168:169], v[174:175], v[168:169], v[6:7]
	s_wait_loadcnt_dscnt 0x100
	v_mul_f64_e32 v[4:5], v[178:179], v[172:173]
	v_mul_f64_e32 v[6:7], v[176:177], v[172:173]
	s_delay_alu instid0(VALU_DEP_2) | instskip(NEXT) | instid1(VALU_DEP_2)
	v_fma_f64 v[172:173], v[176:177], v[170:171], -v[4:5]
	v_fma_f64 v[174:175], v[178:179], v[170:171], v[6:7]
	ds_load_b128 v[176:179], v184 offset:4160
	ds_load_b128 v[185:188], v184 offset:4576
	s_wait_loadcnt_dscnt 0x1
	v_mul_f64_e32 v[4:5], v[178:179], v[182:183]
	v_mul_f64_e32 v[6:7], v[176:177], v[182:183]
	s_delay_alu instid0(VALU_DEP_2) | instskip(NEXT) | instid1(VALU_DEP_2)
	v_fma_f64 v[176:177], v[176:177], v[180:181], -v[4:5]
	v_fma_f64 v[178:179], v[178:179], v[180:181], v[6:7]
	s_clause 0x1
	global_load_b128 v[180:183], v255, s[8:9] offset:4576
	global_load_b128 v[189:192], v255, s[8:9] offset:4992
	s_wait_loadcnt_dscnt 0x100
	v_mul_f64_e32 v[4:5], v[187:188], v[182:183]
	v_mul_f64_e32 v[6:7], v[185:186], v[182:183]
	s_delay_alu instid0(VALU_DEP_2) | instskip(NEXT) | instid1(VALU_DEP_2)
	v_fma_f64 v[185:186], v[185:186], v[180:181], -v[4:5]
	v_fma_f64 v[187:188], v[187:188], v[180:181], v[6:7]
	ds_load_b128 v[180:183], v184 offset:4992
	s_wait_loadcnt_dscnt 0x0
	v_mul_f64_e32 v[4:5], v[182:183], v[191:192]
	v_mul_f64_e32 v[6:7], v[180:181], v[191:192]
	s_delay_alu instid0(VALU_DEP_2) | instskip(NEXT) | instid1(VALU_DEP_2)
	v_fma_f64 v[180:181], v[180:181], v[189:190], -v[4:5]
	v_fma_f64 v[182:183], v[182:183], v[189:190], v[6:7]
	ds_store_b128 v184, v[132:135]
	ds_store_b128 v184, v[136:139] offset:416
	ds_store_b128 v184, v[0:3] offset:832
	;; [unrolled: 1-line block ×12, first 2 shown]
	global_wb scope:SCOPE_SE
	s_wait_dscnt 0x0
	s_barrier_signal -1
	s_barrier_wait -1
	global_inv scope:SCOPE_SE
	ds_load_b128 v[132:135], v184
	ds_load_b128 v[136:139], v184 offset:416
	ds_load_b128 v[140:143], v184 offset:832
	;; [unrolled: 1-line block ×7, first 2 shown]
	s_wait_dscnt 0x6
	v_add_f64_e32 v[0:1], v[132:133], v[136:137]
	v_add_f64_e32 v[2:3], v[134:135], v[138:139]
	s_wait_dscnt 0x0
	v_add_f64_e32 v[164:165], v[156:157], v[160:161]
	v_add_f64_e32 v[176:177], v[158:159], v[162:163]
	v_add_f64_e64 v[178:179], v[158:159], -v[162:163]
	v_add_f64_e32 v[0:1], v[0:1], v[140:141]
	v_add_f64_e32 v[2:3], v[2:3], v[142:143]
	s_delay_alu instid0(VALU_DEP_3) | instskip(NEXT) | instid1(VALU_DEP_3)
	v_mul_f64_e32 v[243:244], s[36:37], v[178:179]
	v_add_f64_e32 v[0:1], v[0:1], v[144:145]
	s_delay_alu instid0(VALU_DEP_3) | instskip(NEXT) | instid1(VALU_DEP_2)
	v_add_f64_e32 v[2:3], v[2:3], v[146:147]
	v_add_f64_e32 v[0:1], v[0:1], v[148:149]
	s_delay_alu instid0(VALU_DEP_2) | instskip(NEXT) | instid1(VALU_DEP_2)
	v_add_f64_e32 v[2:3], v[2:3], v[150:151]
	v_add_f64_e32 v[0:1], v[0:1], v[152:153]
	s_delay_alu instid0(VALU_DEP_2) | instskip(NEXT) | instid1(VALU_DEP_2)
	v_add_f64_e32 v[2:3], v[2:3], v[154:155]
	v_add_f64_e32 v[0:1], v[0:1], v[156:157]
	s_delay_alu instid0(VALU_DEP_2) | instskip(SKIP_1) | instid1(VALU_DEP_3)
	v_add_f64_e32 v[2:3], v[2:3], v[158:159]
	v_add_f64_e64 v[156:157], v[156:157], -v[160:161]
	v_add_f64_e32 v[4:5], v[0:1], v[160:161]
	s_delay_alu instid0(VALU_DEP_3)
	v_add_f64_e32 v[6:7], v[2:3], v[162:163]
	ds_load_b128 v[0:3], v184 offset:3328
	ds_load_b128 v[160:163], v184 offset:3744
	s_wait_dscnt 0x1
	v_add_f64_e32 v[158:159], v[152:153], v[0:1]
	v_add_f64_e32 v[180:181], v[154:155], v[2:3]
	v_add_f64_e64 v[152:153], v[152:153], -v[0:1]
	v_add_f64_e64 v[182:183], v[154:155], -v[2:3]
	s_wait_dscnt 0x0
	v_add_f64_e32 v[185:186], v[150:151], v[162:163]
	v_add_f64_e64 v[191:192], v[150:151], -v[162:163]
	v_add_f64_e32 v[4:5], v[4:5], v[0:1]
	v_add_f64_e32 v[6:7], v[6:7], v[2:3]
	;; [unrolled: 1-line block ×3, first 2 shown]
	v_add_f64_e64 v[2:3], v[148:149], -v[160:161]
	v_mul_f64_e32 v[241:242], s[26:27], v[180:181]
	v_mul_f64_e32 v[239:240], s[34:35], v[182:183]
	;; [unrolled: 1-line block ×4, first 2 shown]
	v_add_f64_e32 v[4:5], v[4:5], v[160:161]
	v_add_f64_e32 v[6:7], v[6:7], v[162:163]
	ds_load_b128 v[160:163], v184 offset:4160
	ds_load_b128 v[166:169], v184 offset:4576
	s_wait_dscnt 0x1
	v_add_f64_e32 v[148:149], v[144:145], v[160:161]
	v_add_f64_e32 v[193:194], v[146:147], v[162:163]
	v_add_f64_e64 v[144:145], v[144:145], -v[160:161]
	v_add_f64_e64 v[195:196], v[146:147], -v[162:163]
	s_wait_dscnt 0x0
	v_add_f64_e32 v[197:198], v[142:143], v[168:169]
	v_add_f64_e64 v[203:204], v[142:143], -v[168:169]
	v_add_f64_e32 v[146:147], v[140:141], v[166:167]
	v_add_f64_e64 v[140:141], v[140:141], -v[166:167]
	v_add_f64_e32 v[4:5], v[4:5], v[160:161]
	v_add_f64_e32 v[6:7], v[6:7], v[162:163]
	ds_load_b128 v[160:163], v184 offset:4992
	global_wb scope:SCOPE_SE
	s_wait_dscnt 0x0
	s_barrier_signal -1
	s_barrier_wait -1
	global_inv scope:SCOPE_SE
	v_add_f64_e64 v[8:9], v[138:139], -v[162:163]
	v_add_f64_e32 v[10:11], v[136:137], v[160:161]
	v_add_f64_e32 v[12:13], v[138:139], v[162:163]
	v_add_f64_e64 v[14:15], v[136:137], -v[160:161]
	v_mul_f64_e32 v[217:218], s[12:13], v[193:194]
	v_add_f64_e32 v[4:5], v[4:5], v[166:167]
	v_add_f64_e32 v[6:7], v[6:7], v[168:169]
	v_mul_f64_e32 v[16:17], s[20:21], v[8:9]
	v_mul_f64_e32 v[18:19], s[14:15], v[8:9]
	;; [unrolled: 1-line block ×7, first 2 shown]
	v_add_f64_e32 v[136:137], v[4:5], v[160:161]
	v_add_f64_e32 v[138:139], v[6:7], v[162:163]
	v_mul_f64_e32 v[4:5], s[30:31], v[8:9]
	v_mul_f64_e32 v[6:7], s[18:19], v[8:9]
	;; [unrolled: 1-line block ×3, first 2 shown]
	v_fma_f64 v[160:161], v[10:11], s[26:27], v[16:17]
	v_fma_f64 v[16:17], v[10:11], s[26:27], -v[16:17]
	v_fma_f64 v[162:163], v[10:11], s[22:23], v[18:19]
	v_fma_f64 v[18:19], v[10:11], s[22:23], -v[18:19]
	v_fma_f64 v[166:167], v[10:11], s[16:17], v[20:21]
	v_fma_f64 v[20:21], v[10:11], s[16:17], -v[20:21]
	v_fma_f64 v[187:188], v[14:15], s[42:43], v[142:143]
	v_fma_f64 v[189:190], v[14:15], s[18:19], v[142:143]
	;; [unrolled: 1-line block ×9, first 2 shown]
	v_fma_f64 v[4:5], v[10:11], s[28:29], -v[4:5]
	v_fma_f64 v[154:155], v[10:11], s[24:25], v[6:7]
	v_fma_f64 v[6:7], v[10:11], s[24:25], -v[6:7]
	v_fma_f64 v[168:169], v[10:11], s[12:13], v[8:9]
	v_fma_f64 v[8:9], v[10:11], s[12:13], -v[8:9]
	v_mul_f64_e32 v[10:11], s[28:29], v[12:13]
	v_mul_f64_e32 v[12:13], s[12:13], v[12:13]
	v_add_f64_e32 v[219:220], v[132:133], v[160:161]
	v_mul_f64_e32 v[160:161], s[24:25], v[197:198]
	v_add_f64_e32 v[227:228], v[132:133], v[162:163]
	;; [unrolled: 2-line block ×4, first 2 shown]
	v_add_f64_e32 v[215:216], v[134:135], v[189:190]
	v_add_f64_e32 v[18:19], v[132:133], v[18:19]
	;; [unrolled: 1-line block ×5, first 2 shown]
	v_mul_f64_e32 v[170:171], s[22:23], v[185:186]
	v_add_f64_e32 v[205:206], v[134:135], v[172:173]
	v_mul_f64_e32 v[172:173], s[10:11], v[182:183]
	v_add_f64_e32 v[237:238], v[134:135], v[207:208]
	v_add_f64_e32 v[207:208], v[132:133], v[20:21]
	;; [unrolled: 1-line block ×5, first 2 shown]
	v_mul_f64_e32 v[154:155], s[18:19], v[203:204]
	v_add_f64_e32 v[201:202], v[132:133], v[168:169]
	v_add_f64_e32 v[189:190], v[132:133], v[8:9]
	v_fma_f64 v[174:175], v[14:15], s[36:37], v[10:11]
	v_fma_f64 v[10:11], v[14:15], s[30:31], v[10:11]
	;; [unrolled: 1-line block ×4, first 2 shown]
	v_add_f64_e32 v[14:15], v[132:133], v[22:23]
	v_mul_f64_e32 v[168:169], s[14:15], v[191:192]
	v_add_f64_e32 v[6:7], v[132:133], v[6:7]
	v_fma_f64 v[8:9], v[146:147], s[24:25], v[154:155]
	v_add_f64_e32 v[22:23], v[134:135], v[174:175]
	v_add_f64_e32 v[150:151], v[134:135], v[10:11]
	;; [unrolled: 1-line block ×4, first 2 shown]
	v_fma_f64 v[12:13], v[140:141], s[42:43], v[160:161]
	v_mul_f64_e32 v[174:175], s[16:17], v[180:181]
	v_add_f64_e32 v[199:200], v[134:135], v[211:212]
	v_add_f64_e32 v[8:9], v[8:9], v[14:15]
	v_fma_f64 v[14:15], v[148:149], s[26:27], v[162:163]
	v_add_f64_e32 v[12:13], v[12:13], v[22:23]
	s_delay_alu instid0(VALU_DEP_2) | instskip(SKIP_1) | instid1(VALU_DEP_1)
	v_add_f64_e32 v[8:9], v[14:15], v[8:9]
	v_fma_f64 v[14:15], v[144:145], s[34:35], v[166:167]
	v_add_f64_e32 v[12:13], v[14:15], v[12:13]
	v_fma_f64 v[14:15], v[0:1], s[22:23], v[168:169]
	s_delay_alu instid0(VALU_DEP_1) | instskip(SKIP_1) | instid1(VALU_DEP_1)
	v_add_f64_e32 v[8:9], v[14:15], v[8:9]
	v_fma_f64 v[14:15], v[2:3], s[40:41], v[170:171]
	v_add_f64_e32 v[12:13], v[14:15], v[12:13]
	v_fma_f64 v[14:15], v[158:159], s[16:17], v[172:173]
	s_delay_alu instid0(VALU_DEP_1) | instskip(SKIP_1) | instid1(VALU_DEP_1)
	v_add_f64_e32 v[8:9], v[14:15], v[8:9]
	v_fma_f64 v[14:15], v[152:153], s[38:39], v[174:175]
	v_add_f64_e32 v[12:13], v[14:15], v[12:13]
	v_mul_f64_e32 v[14:15], s[0:1], v[178:179]
	s_delay_alu instid0(VALU_DEP_1) | instskip(NEXT) | instid1(VALU_DEP_1)
	v_fma_f64 v[20:21], v[164:165], s[12:13], v[14:15]
	v_add_f64_e32 v[132:133], v[20:21], v[8:9]
	v_mul_f64_e32 v[8:9], s[12:13], v[176:177]
	s_delay_alu instid0(VALU_DEP_1) | instskip(NEXT) | instid1(VALU_DEP_1)
	;; [unrolled: 4-line block ×5, first 2 shown]
	v_fma_f64 v[211:212], v[148:149], s[12:13], v[22:23]
	v_add_f64_e32 v[4:5], v[211:212], v[4:5]
	v_fma_f64 v[211:212], v[144:145], s[44:45], v[217:218]
	s_delay_alu instid0(VALU_DEP_1) | instskip(SKIP_1) | instid1(VALU_DEP_1)
	v_add_f64_e32 v[10:11], v[211:212], v[10:11]
	v_fma_f64 v[211:212], v[0:1], s[16:17], v[225:226]
	v_add_f64_e32 v[4:5], v[211:212], v[4:5]
	v_fma_f64 v[211:212], v[2:3], s[10:11], v[233:234]
	s_delay_alu instid0(VALU_DEP_1) | instskip(SKIP_1) | instid1(VALU_DEP_1)
	v_add_f64_e32 v[10:11], v[211:212], v[10:11]
	;; [unrolled: 5-line block ×3, first 2 shown]
	v_fma_f64 v[211:212], v[164:165], s[28:29], v[243:244]
	v_add_f64_e32 v[211:212], v[211:212], v[4:5]
	v_mul_f64_e32 v[4:5], s[28:29], v[176:177]
	s_delay_alu instid0(VALU_DEP_1) | instskip(SKIP_1) | instid1(VALU_DEP_2)
	v_fma_f64 v[213:214], v[156:157], s[30:31], v[4:5]
	v_fma_f64 v[4:5], v[156:157], s[36:37], v[4:5]
	v_add_f64_e32 v[213:214], v[213:214], v[10:11]
	v_fma_f64 v[10:11], v[146:147], s[22:23], -v[12:13]
	v_fma_f64 v[12:13], v[148:149], s[12:13], -v[22:23]
	s_delay_alu instid0(VALU_DEP_2) | instskip(SKIP_2) | instid1(VALU_DEP_3)
	v_add_f64_e32 v[6:7], v[10:11], v[6:7]
	v_fma_f64 v[10:11], v[140:141], s[14:15], v[20:21]
	v_mul_f64_e32 v[20:21], s[40:41], v[195:196]
	v_add_f64_e32 v[6:7], v[12:13], v[6:7]
	s_delay_alu instid0(VALU_DEP_3) | instskip(SKIP_1) | instid1(VALU_DEP_4)
	v_add_f64_e32 v[10:11], v[10:11], v[215:216]
	v_fma_f64 v[12:13], v[144:145], s[0:1], v[217:218]
	v_fma_f64 v[22:23], v[148:149], s[22:23], v[20:21]
	s_delay_alu instid0(VALU_DEP_2) | instskip(SKIP_2) | instid1(VALU_DEP_2)
	v_add_f64_e32 v[10:11], v[12:13], v[10:11]
	v_fma_f64 v[12:13], v[0:1], s[16:17], -v[225:226]
	v_mul_f64_e32 v[225:226], s[36:37], v[191:192]
	v_add_f64_e32 v[6:7], v[12:13], v[6:7]
	v_fma_f64 v[12:13], v[2:3], s[38:39], v[233:234]
	v_mul_f64_e32 v[233:234], s[28:29], v[185:186]
	s_delay_alu instid0(VALU_DEP_2) | instskip(SKIP_2) | instid1(VALU_DEP_2)
	v_add_f64_e32 v[10:11], v[12:13], v[10:11]
	v_fma_f64 v[12:13], v[158:159], s[26:27], -v[239:240]
	v_mul_f64_e32 v[239:240], s[18:19], v[182:183]
	v_add_f64_e32 v[6:7], v[12:13], v[6:7]
	v_fma_f64 v[12:13], v[152:153], s[34:35], v[241:242]
	v_mul_f64_e32 v[241:242], s[24:25], v[180:181]
	s_delay_alu instid0(VALU_DEP_2) | instskip(SKIP_2) | instid1(VALU_DEP_3)
	v_add_f64_e32 v[10:11], v[12:13], v[10:11]
	v_fma_f64 v[12:13], v[164:165], s[28:29], -v[243:244]
	v_mul_f64_e32 v[243:244], s[10:11], v[178:179]
	v_add_f64_e32 v[217:218], v[4:5], v[10:11]
	v_mul_f64_e32 v[4:5], s[0:1], v[203:204]
	s_delay_alu instid0(VALU_DEP_4) | instskip(SKIP_1) | instid1(VALU_DEP_3)
	v_add_f64_e32 v[215:216], v[12:13], v[6:7]
	v_mul_f64_e32 v[10:11], s[12:13], v[197:198]
	v_fma_f64 v[6:7], v[146:147], s[12:13], v[4:5]
	v_fma_f64 v[4:5], v[146:147], s[12:13], -v[4:5]
	s_delay_alu instid0(VALU_DEP_3) | instskip(SKIP_1) | instid1(VALU_DEP_4)
	v_fma_f64 v[12:13], v[140:141], s[44:45], v[10:11]
	v_fma_f64 v[10:11], v[140:141], s[0:1], v[10:11]
	v_add_f64_e32 v[6:7], v[6:7], v[219:220]
	s_delay_alu instid0(VALU_DEP_4) | instskip(NEXT) | instid1(VALU_DEP_4)
	v_add_f64_e32 v[4:5], v[4:5], v[16:17]
	v_add_f64_e32 v[12:13], v[12:13], v[221:222]
	s_delay_alu instid0(VALU_DEP_4) | instskip(SKIP_3) | instid1(VALU_DEP_1)
	v_add_f64_e32 v[10:11], v[10:11], v[223:224]
	v_mul_f64_e32 v[16:17], s[36:37], v[195:196]
	v_add_f64_e32 v[6:7], v[22:23], v[6:7]
	v_mul_f64_e32 v[22:23], s[22:23], v[193:194]
	v_fma_f64 v[219:220], v[144:145], s[14:15], v[22:23]
	s_delay_alu instid0(VALU_DEP_1) | instskip(SKIP_1) | instid1(VALU_DEP_1)
	v_add_f64_e32 v[12:13], v[219:220], v[12:13]
	v_fma_f64 v[219:220], v[0:1], s[28:29], v[225:226]
	v_add_f64_e32 v[6:7], v[219:220], v[6:7]
	v_fma_f64 v[219:220], v[2:3], s[30:31], v[233:234]
	s_delay_alu instid0(VALU_DEP_1) | instskip(SKIP_1) | instid1(VALU_DEP_1)
	v_add_f64_e32 v[12:13], v[219:220], v[12:13]
	v_fma_f64 v[219:220], v[158:159], s[24:25], v[239:240]
	v_add_f64_e32 v[6:7], v[219:220], v[6:7]
	v_fma_f64 v[219:220], v[152:153], s[42:43], v[241:242]
	s_delay_alu instid0(VALU_DEP_1) | instskip(SKIP_1) | instid1(VALU_DEP_1)
	v_add_f64_e32 v[12:13], v[219:220], v[12:13]
	v_fma_f64 v[219:220], v[164:165], s[16:17], v[243:244]
	v_add_f64_e32 v[219:220], v[219:220], v[6:7]
	v_mul_f64_e32 v[6:7], s[16:17], v[176:177]
	s_delay_alu instid0(VALU_DEP_1) | instskip(SKIP_1) | instid1(VALU_DEP_2)
	v_fma_f64 v[221:222], v[156:157], s[38:39], v[6:7]
	v_fma_f64 v[6:7], v[156:157], s[10:11], v[6:7]
	v_add_f64_e32 v[221:222], v[221:222], v[12:13]
	v_fma_f64 v[12:13], v[148:149], s[22:23], -v[20:21]
	v_fma_f64 v[20:21], v[148:149], s[28:29], v[16:17]
	s_delay_alu instid0(VALU_DEP_2) | instskip(SKIP_1) | instid1(VALU_DEP_1)
	v_add_f64_e32 v[4:5], v[12:13], v[4:5]
	v_fma_f64 v[12:13], v[144:145], s[40:41], v[22:23]
	v_add_f64_e32 v[10:11], v[12:13], v[10:11]
	v_fma_f64 v[12:13], v[0:1], s[28:29], -v[225:226]
	s_delay_alu instid0(VALU_DEP_1) | instskip(SKIP_2) | instid1(VALU_DEP_2)
	v_add_f64_e32 v[4:5], v[12:13], v[4:5]
	v_fma_f64 v[12:13], v[2:3], s[36:37], v[233:234]
	v_mul_f64_e32 v[233:234], s[26:27], v[185:186]
	v_add_f64_e32 v[10:11], v[12:13], v[10:11]
	v_fma_f64 v[12:13], v[158:159], s[24:25], -v[239:240]
	v_mul_f64_e32 v[239:240], s[44:45], v[182:183]
	s_delay_alu instid0(VALU_DEP_2) | instskip(SKIP_2) | instid1(VALU_DEP_2)
	v_add_f64_e32 v[4:5], v[12:13], v[4:5]
	v_fma_f64 v[12:13], v[152:153], s[18:19], v[241:242]
	v_mul_f64_e32 v[241:242], s[12:13], v[180:181]
	v_add_f64_e32 v[10:11], v[12:13], v[10:11]
	v_fma_f64 v[12:13], v[164:165], s[16:17], -v[243:244]
	v_mul_f64_e32 v[243:244], s[42:43], v[178:179]
	s_delay_alu instid0(VALU_DEP_3) | instskip(NEXT) | instid1(VALU_DEP_3)
	v_add_f64_e32 v[225:226], v[6:7], v[10:11]
	v_add_f64_e32 v[223:224], v[12:13], v[4:5]
	v_mul_f64_e32 v[4:5], s[38:39], v[203:204]
	v_mul_f64_e32 v[10:11], s[16:17], v[197:198]
	s_delay_alu instid0(VALU_DEP_2) | instskip(NEXT) | instid1(VALU_DEP_2)
	v_fma_f64 v[6:7], v[146:147], s[16:17], v[4:5]
	v_fma_f64 v[12:13], v[140:141], s[10:11], v[10:11]
	v_fma_f64 v[4:5], v[146:147], s[16:17], -v[4:5]
	v_fma_f64 v[10:11], v[140:141], s[38:39], v[10:11]
	s_delay_alu instid0(VALU_DEP_4) | instskip(NEXT) | instid1(VALU_DEP_4)
	v_add_f64_e32 v[6:7], v[6:7], v[227:228]
	v_add_f64_e32 v[12:13], v[12:13], v[229:230]
	s_delay_alu instid0(VALU_DEP_4) | instskip(NEXT) | instid1(VALU_DEP_4)
	v_add_f64_e32 v[4:5], v[4:5], v[18:19]
	v_add_f64_e32 v[10:11], v[10:11], v[231:232]
	s_delay_alu instid0(VALU_DEP_4) | instskip(SKIP_1) | instid1(VALU_DEP_1)
	v_add_f64_e32 v[6:7], v[20:21], v[6:7]
	v_mul_f64_e32 v[20:21], s[28:29], v[193:194]
	v_fma_f64 v[22:23], v[144:145], s[30:31], v[20:21]
	s_delay_alu instid0(VALU_DEP_1) | instskip(SKIP_1) | instid1(VALU_DEP_1)
	v_add_f64_e32 v[12:13], v[22:23], v[12:13]
	v_mul_f64_e32 v[22:23], s[20:21], v[191:192]
	v_fma_f64 v[227:228], v[0:1], s[26:27], v[22:23]
	s_delay_alu instid0(VALU_DEP_1) | instskip(SKIP_1) | instid1(VALU_DEP_1)
	v_add_f64_e32 v[6:7], v[227:228], v[6:7]
	v_fma_f64 v[227:228], v[2:3], s[34:35], v[233:234]
	v_add_f64_e32 v[12:13], v[227:228], v[12:13]
	v_fma_f64 v[227:228], v[158:159], s[12:13], v[239:240]
	s_delay_alu instid0(VALU_DEP_1) | instskip(SKIP_1) | instid1(VALU_DEP_1)
	v_add_f64_e32 v[6:7], v[227:228], v[6:7]
	v_fma_f64 v[227:228], v[152:153], s[0:1], v[241:242]
	v_add_f64_e32 v[12:13], v[227:228], v[12:13]
	v_fma_f64 v[227:228], v[164:165], s[24:25], v[243:244]
	s_delay_alu instid0(VALU_DEP_1) | instskip(SKIP_1) | instid1(VALU_DEP_1)
	v_add_f64_e32 v[227:228], v[227:228], v[6:7]
	v_mul_f64_e32 v[6:7], s[24:25], v[176:177]
	v_fma_f64 v[229:230], v[156:157], s[18:19], v[6:7]
	v_fma_f64 v[6:7], v[156:157], s[42:43], v[6:7]
	s_delay_alu instid0(VALU_DEP_2) | instskip(SKIP_2) | instid1(VALU_DEP_2)
	v_add_f64_e32 v[229:230], v[229:230], v[12:13]
	v_fma_f64 v[12:13], v[148:149], s[28:29], -v[16:17]
	v_mul_f64_e32 v[16:17], s[18:19], v[195:196]
	v_add_f64_e32 v[4:5], v[12:13], v[4:5]
	v_fma_f64 v[12:13], v[144:145], s[36:37], v[20:21]
	s_delay_alu instid0(VALU_DEP_3) | instskip(NEXT) | instid1(VALU_DEP_2)
	v_fma_f64 v[18:19], v[148:149], s[24:25], v[16:17]
	v_add_f64_e32 v[10:11], v[12:13], v[10:11]
	v_fma_f64 v[12:13], v[0:1], s[26:27], -v[22:23]
	s_delay_alu instid0(VALU_DEP_1) | instskip(SKIP_1) | instid1(VALU_DEP_1)
	v_add_f64_e32 v[4:5], v[12:13], v[4:5]
	v_fma_f64 v[12:13], v[2:3], s[20:21], v[233:234]
	v_add_f64_e32 v[10:11], v[12:13], v[10:11]
	v_fma_f64 v[12:13], v[158:159], s[12:13], -v[239:240]
	v_mul_f64_e32 v[239:240], s[36:37], v[182:183]
	v_mul_f64_e32 v[182:183], s[14:15], v[182:183]
	s_delay_alu instid0(VALU_DEP_3) | instskip(SKIP_3) | instid1(VALU_DEP_3)
	v_add_f64_e32 v[4:5], v[12:13], v[4:5]
	v_fma_f64 v[12:13], v[152:153], s[44:45], v[241:242]
	v_mul_f64_e32 v[241:242], s[28:29], v[180:181]
	v_mul_f64_e32 v[180:181], s[22:23], v[180:181]
	v_add_f64_e32 v[10:11], v[12:13], v[10:11]
	v_fma_f64 v[12:13], v[164:165], s[24:25], -v[243:244]
	v_mul_f64_e32 v[243:244], s[14:15], v[178:179]
	s_delay_alu instid0(VALU_DEP_3) | instskip(NEXT) | instid1(VALU_DEP_3)
	v_add_f64_e32 v[233:234], v[6:7], v[10:11]
	v_add_f64_e32 v[231:232], v[12:13], v[4:5]
	v_mul_f64_e32 v[4:5], s[34:35], v[203:204]
	v_mul_f64_e32 v[10:11], s[26:27], v[197:198]
	s_delay_alu instid0(VALU_DEP_2) | instskip(NEXT) | instid1(VALU_DEP_2)
	v_fma_f64 v[6:7], v[146:147], s[26:27], v[4:5]
	v_fma_f64 v[12:13], v[140:141], s[20:21], v[10:11]
	v_fma_f64 v[4:5], v[146:147], s[26:27], -v[4:5]
	v_fma_f64 v[10:11], v[140:141], s[34:35], v[10:11]
	s_delay_alu instid0(VALU_DEP_4) | instskip(NEXT) | instid1(VALU_DEP_4)
	v_add_f64_e32 v[6:7], v[6:7], v[235:236]
	v_add_f64_e32 v[12:13], v[12:13], v[237:238]
	s_delay_alu instid0(VALU_DEP_4) | instskip(NEXT) | instid1(VALU_DEP_4)
	v_add_f64_e32 v[4:5], v[4:5], v[207:208]
	v_add_f64_e32 v[10:11], v[10:11], v[205:206]
	s_delay_alu instid0(VALU_DEP_4) | instskip(SKIP_1) | instid1(VALU_DEP_1)
	v_add_f64_e32 v[6:7], v[18:19], v[6:7]
	v_mul_f64_e32 v[18:19], s[24:25], v[193:194]
	v_fma_f64 v[20:21], v[144:145], s[42:43], v[18:19]
	s_delay_alu instid0(VALU_DEP_1) | instskip(SKIP_1) | instid1(VALU_DEP_1)
	v_add_f64_e32 v[12:13], v[20:21], v[12:13]
	v_mul_f64_e32 v[20:21], s[44:45], v[191:192]
	v_fma_f64 v[22:23], v[0:1], s[12:13], v[20:21]
	s_delay_alu instid0(VALU_DEP_1) | instskip(SKIP_1) | instid1(VALU_DEP_1)
	v_add_f64_e32 v[6:7], v[22:23], v[6:7]
	v_mul_f64_e32 v[22:23], s[12:13], v[185:186]
	v_fma_f64 v[235:236], v[2:3], s[0:1], v[22:23]
	s_delay_alu instid0(VALU_DEP_1) | instskip(SKIP_1) | instid1(VALU_DEP_1)
	v_add_f64_e32 v[12:13], v[235:236], v[12:13]
	v_fma_f64 v[235:236], v[158:159], s[28:29], v[239:240]
	v_add_f64_e32 v[6:7], v[235:236], v[6:7]
	v_fma_f64 v[235:236], v[152:153], s[30:31], v[241:242]
	s_delay_alu instid0(VALU_DEP_1) | instskip(SKIP_1) | instid1(VALU_DEP_1)
	v_add_f64_e32 v[12:13], v[235:236], v[12:13]
	v_fma_f64 v[235:236], v[164:165], s[22:23], v[243:244]
	v_add_f64_e32 v[235:236], v[235:236], v[6:7]
	v_mul_f64_e32 v[6:7], s[22:23], v[176:177]
	s_delay_alu instid0(VALU_DEP_1) | instskip(SKIP_1) | instid1(VALU_DEP_2)
	v_fma_f64 v[237:238], v[156:157], s[40:41], v[6:7]
	v_fma_f64 v[6:7], v[156:157], s[14:15], v[6:7]
	v_add_f64_e32 v[237:238], v[237:238], v[12:13]
	v_fma_f64 v[12:13], v[148:149], s[24:25], -v[16:17]
	v_mul_f64_e32 v[16:17], s[10:11], v[195:196]
	s_delay_alu instid0(VALU_DEP_2) | instskip(SKIP_1) | instid1(VALU_DEP_3)
	v_add_f64_e32 v[4:5], v[12:13], v[4:5]
	v_fma_f64 v[12:13], v[144:145], s[18:19], v[18:19]
	v_fma_f64 v[18:19], v[148:149], s[16:17], v[16:17]
	s_delay_alu instid0(VALU_DEP_2) | instskip(SKIP_1) | instid1(VALU_DEP_1)
	v_add_f64_e32 v[10:11], v[12:13], v[10:11]
	v_fma_f64 v[12:13], v[0:1], s[12:13], -v[20:21]
	v_add_f64_e32 v[4:5], v[12:13], v[4:5]
	v_fma_f64 v[12:13], v[2:3], s[44:45], v[22:23]
	s_delay_alu instid0(VALU_DEP_1) | instskip(SKIP_1) | instid1(VALU_DEP_1)
	v_add_f64_e32 v[10:11], v[12:13], v[10:11]
	v_fma_f64 v[12:13], v[158:159], s[28:29], -v[239:240]
	v_add_f64_e32 v[4:5], v[12:13], v[4:5]
	v_fma_f64 v[12:13], v[152:153], s[36:37], v[241:242]
	s_delay_alu instid0(VALU_DEP_1) | instskip(SKIP_1) | instid1(VALU_DEP_2)
	v_add_f64_e32 v[10:11], v[12:13], v[10:11]
	v_fma_f64 v[12:13], v[164:165], s[22:23], -v[243:244]
	v_add_f64_e32 v[207:208], v[6:7], v[10:11]
	s_delay_alu instid0(VALU_DEP_2) | instskip(SKIP_2) | instid1(VALU_DEP_2)
	v_add_f64_e32 v[205:206], v[12:13], v[4:5]
	v_mul_f64_e32 v[4:5], s[36:37], v[203:204]
	v_mul_f64_e32 v[10:11], s[28:29], v[197:198]
	v_fma_f64 v[6:7], v[146:147], s[28:29], v[4:5]
	s_delay_alu instid0(VALU_DEP_2) | instskip(SKIP_1) | instid1(VALU_DEP_3)
	v_fma_f64 v[12:13], v[140:141], s[30:31], v[10:11]
	v_fma_f64 v[4:5], v[146:147], s[28:29], -v[4:5]
	v_add_f64_e32 v[6:7], v[6:7], v[201:202]
	s_delay_alu instid0(VALU_DEP_3) | instskip(NEXT) | instid1(VALU_DEP_3)
	v_add_f64_e32 v[12:13], v[12:13], v[199:200]
	v_add_f64_e32 v[4:5], v[4:5], v[189:190]
	s_delay_alu instid0(VALU_DEP_3) | instskip(SKIP_1) | instid1(VALU_DEP_1)
	v_add_f64_e32 v[6:7], v[18:19], v[6:7]
	v_mul_f64_e32 v[18:19], s[16:17], v[193:194]
	v_fma_f64 v[20:21], v[144:145], s[38:39], v[18:19]
	s_delay_alu instid0(VALU_DEP_1) | instskip(SKIP_2) | instid1(VALU_DEP_2)
	v_add_f64_e32 v[12:13], v[20:21], v[12:13]
	v_mul_f64_e32 v[20:21], s[42:43], v[191:192]
	v_mul_f64_e32 v[191:192], s[26:27], v[176:177]
	v_fma_f64 v[22:23], v[0:1], s[24:25], v[20:21]
	s_delay_alu instid0(VALU_DEP_1) | instskip(SKIP_1) | instid1(VALU_DEP_1)
	v_add_f64_e32 v[6:7], v[22:23], v[6:7]
	v_mul_f64_e32 v[22:23], s[24:25], v[185:186]
	v_fma_f64 v[185:186], v[2:3], s[18:19], v[22:23]
	s_delay_alu instid0(VALU_DEP_1) | instskip(SKIP_1) | instid1(VALU_DEP_1)
	v_add_f64_e32 v[12:13], v[185:186], v[12:13]
	v_fma_f64 v[185:186], v[158:159], s[22:23], v[182:183]
	v_add_f64_e32 v[6:7], v[185:186], v[6:7]
	v_fma_f64 v[185:186], v[152:153], s[40:41], v[180:181]
	s_delay_alu instid0(VALU_DEP_1) | instskip(SKIP_1) | instid1(VALU_DEP_1)
	v_add_f64_e32 v[12:13], v[185:186], v[12:13]
	v_mul_f64_e32 v[185:186], s[34:35], v[178:179]
	v_fma_f64 v[176:177], v[164:165], s[26:27], v[185:186]
	s_delay_alu instid0(VALU_DEP_1) | instskip(SKIP_1) | instid1(VALU_DEP_1)
	v_add_f64_e32 v[176:177], v[176:177], v[6:7]
	v_fma_f64 v[6:7], v[156:157], s[20:21], v[191:192]
	v_add_f64_e32 v[178:179], v[6:7], v[12:13]
	v_fma_f64 v[6:7], v[140:141], s[36:37], v[10:11]
	v_fma_f64 v[10:11], v[148:149], s[16:17], -v[16:17]
	v_fma_f64 v[12:13], v[156:157], s[34:35], v[191:192]
	s_delay_alu instid0(VALU_DEP_3) | instskip(NEXT) | instid1(VALU_DEP_3)
	v_add_f64_e32 v[6:7], v[6:7], v[187:188]
	v_add_f64_e32 v[4:5], v[10:11], v[4:5]
	v_fma_f64 v[10:11], v[144:145], s[10:11], v[18:19]
	s_delay_alu instid0(VALU_DEP_1) | instskip(SKIP_2) | instid1(VALU_DEP_2)
	v_add_f64_e32 v[6:7], v[10:11], v[6:7]
	v_fma_f64 v[10:11], v[0:1], s[24:25], -v[20:21]
	v_fma_f64 v[0:1], v[0:1], s[22:23], -v[168:169]
	v_add_f64_e32 v[4:5], v[10:11], v[4:5]
	v_fma_f64 v[10:11], v[2:3], s[42:43], v[22:23]
	v_fma_f64 v[2:3], v[2:3], s[14:15], v[170:171]
	s_delay_alu instid0(VALU_DEP_2) | instskip(SKIP_1) | instid1(VALU_DEP_1)
	v_add_f64_e32 v[6:7], v[10:11], v[6:7]
	v_fma_f64 v[10:11], v[158:159], s[22:23], -v[182:183]
	v_add_f64_e32 v[4:5], v[10:11], v[4:5]
	v_fma_f64 v[10:11], v[152:153], s[14:15], v[180:181]
	s_delay_alu instid0(VALU_DEP_1) | instskip(SKIP_1) | instid1(VALU_DEP_2)
	v_add_f64_e32 v[6:7], v[10:11], v[6:7]
	v_fma_f64 v[10:11], v[164:165], s[26:27], -v[185:186]
	v_add_f64_e32 v[182:183], v[12:13], v[6:7]
	s_delay_alu instid0(VALU_DEP_2) | instskip(SKIP_4) | instid1(VALU_DEP_4)
	v_add_f64_e32 v[180:181], v[10:11], v[4:5]
	v_fma_f64 v[4:5], v[146:147], s[24:25], -v[154:155]
	v_fma_f64 v[6:7], v[140:141], s[18:19], v[160:161]
	v_fma_f64 v[10:11], v[148:149], s[26:27], -v[162:163]
	v_fma_f64 v[12:13], v[144:145], s[20:21], v[166:167]
	v_add_f64_e32 v[4:5], v[4:5], v[142:143]
	s_delay_alu instid0(VALU_DEP_4) | instskip(NEXT) | instid1(VALU_DEP_2)
	v_add_f64_e32 v[6:7], v[6:7], v[150:151]
	v_add_f64_e32 v[4:5], v[10:11], v[4:5]
	s_delay_alu instid0(VALU_DEP_2) | instskip(SKIP_2) | instid1(VALU_DEP_4)
	v_add_f64_e32 v[6:7], v[12:13], v[6:7]
	v_fma_f64 v[10:11], v[158:159], s[16:17], -v[172:173]
	v_fma_f64 v[12:13], v[152:153], s[10:11], v[174:175]
	v_add_f64_e32 v[0:1], v[0:1], v[4:5]
	s_delay_alu instid0(VALU_DEP_4) | instskip(SKIP_2) | instid1(VALU_DEP_4)
	v_add_f64_e32 v[2:3], v[2:3], v[6:7]
	v_fma_f64 v[4:5], v[164:165], s[12:13], -v[14:15]
	v_fma_f64 v[6:7], v[156:157], s[0:1], v[8:9]
	v_add_f64_e32 v[0:1], v[10:11], v[0:1]
	s_delay_alu instid0(VALU_DEP_4) | instskip(NEXT) | instid1(VALU_DEP_2)
	v_add_f64_e32 v[2:3], v[12:13], v[2:3]
	v_add_f64_e32 v[140:141], v[4:5], v[0:1]
	s_delay_alu instid0(VALU_DEP_2)
	v_add_f64_e32 v[142:143], v[6:7], v[2:3]
	ds_store_b128 v209, v[211:214] offset:32
	ds_store_b128 v209, v[219:222] offset:48
	;; [unrolled: 1-line block ×11, first 2 shown]
	ds_store_b128 v209, v[136:139]
	ds_store_b128 v209, v[140:143] offset:192
	global_wb scope:SCOPE_SE
	s_wait_dscnt 0x0
	s_barrier_signal -1
	s_barrier_wait -1
	global_inv scope:SCOPE_SE
	ds_load_b128 v[132:135], v184
	ds_load_b128 v[136:139], v184 offset:416
	ds_load_b128 v[160:163], v184 offset:2704
	;; [unrolled: 1-line block ×11, first 2 shown]
	s_and_saveexec_b32 s0, vcc_lo
	s_cbranch_execz .LBB0_7
; %bb.6:
	ds_load_b128 v[140:143], v184 offset:2496
	ds_load_b128 v[92:95], v184 offset:5200
.LBB0_7:
	s_wait_alu 0xfffe
	s_or_b32 exec_lo, exec_lo, s0
	s_wait_dscnt 0x8
	v_mul_f64_e32 v[4:5], v[78:79], v[166:167]
	s_wait_dscnt 0x0
	v_mul_f64_e32 v[20:21], v[74:75], v[182:183]
	v_mul_f64_e32 v[22:23], v[74:75], v[180:181]
	global_wb scope:SCOPE_SE
	s_barrier_signal -1
	s_barrier_wait -1
	global_inv scope:SCOPE_SE
	v_mul_f64_e32 v[0:1], v[86:87], v[162:163]
	v_mul_f64_e32 v[2:3], v[86:87], v[160:161]
	;; [unrolled: 1-line block ×9, first 2 shown]
	v_fma_f64 v[4:5], v[76:77], v[164:165], v[4:5]
	v_fma_f64 v[20:21], v[72:73], v[180:181], v[20:21]
	v_fma_f64 v[22:23], v[72:73], v[182:183], -v[22:23]
	v_fma_f64 v[0:1], v[84:85], v[160:161], v[0:1]
	v_fma_f64 v[2:3], v[84:85], v[162:163], -v[2:3]
	v_fma_f64 v[6:7], v[76:77], v[166:167], -v[6:7]
	v_fma_f64 v[8:9], v[96:97], v[168:169], v[8:9]
	v_fma_f64 v[10:11], v[96:97], v[170:171], -v[10:11]
	v_fma_f64 v[12:13], v[88:89], v[172:173], v[12:13]
	;; [unrolled: 2-line block ×3, first 2 shown]
	v_fma_f64 v[18:19], v[80:81], v[178:179], -v[18:19]
	v_add_f64_e64 v[72:73], v[136:137], -v[4:5]
	scratch_load_b32 v4, off, off offset:116 th:TH_LOAD_LU ; 4-byte Folded Reload
	v_add_f64_e64 v[88:89], v[148:149], -v[20:21]
	v_add_f64_e64 v[90:91], v[150:151], -v[22:23]
	;; [unrolled: 1-line block ×11, first 2 shown]
	v_fma_f64 v[148:149], v[148:149], 2.0, -v[88:89]
	v_fma_f64 v[150:151], v[150:151], 2.0, -v[90:91]
	;; [unrolled: 1-line block ×12, first 2 shown]
	s_wait_loadcnt 0x0
	ds_store_b128 v4, v[96:99]
	ds_store_b128 v4, v[0:3] offset:208
	ds_store_b128 v210, v[132:135]
	ds_store_b128 v210, v[72:75] offset:208
	scratch_load_b32 v0, off, off offset:132 th:TH_LOAD_LU ; 4-byte Folded Reload
	s_wait_loadcnt 0x0
	ds_store_b128 v0, v[136:139]
	ds_store_b128 v0, v[76:79] offset:208
	scratch_load_b32 v0, off, off offset:128 th:TH_LOAD_LU ; 4-byte Folded Reload
	s_wait_loadcnt 0x0
	;; [unrolled: 4-line block ×4, first 2 shown]
	ds_store_b128 v0, v[148:151]
	ds_store_b128 v0, v[88:91] offset:208
	s_and_saveexec_b32 s0, vcc_lo
	s_cbranch_execz .LBB0_9
; %bb.8:
	v_mul_f64_e32 v[0:1], v[54:55], v[92:93]
	v_mul_f64_e32 v[2:3], v[54:55], v[94:95]
	s_delay_alu instid0(VALU_DEP_2) | instskip(NEXT) | instid1(VALU_DEP_2)
	v_fma_f64 v[0:1], v[52:53], v[94:95], -v[0:1]
	v_fma_f64 v[4:5], v[52:53], v[92:93], v[2:3]
	s_delay_alu instid0(VALU_DEP_2) | instskip(NEXT) | instid1(VALU_DEP_2)
	v_add_f64_e64 v[2:3], v[142:143], -v[0:1]
	v_add_f64_e64 v[0:1], v[140:141], -v[4:5]
	s_clause 0x1
	scratch_load_b32 v4, off, off th:TH_LOAD_LU
	scratch_load_b32 v5, off, off offset:112 th:TH_LOAD_LU
	v_fma_f64 v[54:55], v[142:143], 2.0, -v[2:3]
	v_fma_f64 v[52:53], v[140:141], 2.0, -v[0:1]
	s_wait_loadcnt 0x0
	v_lshl_add_u32 v4, v5, 4, v4
	ds_store_b128 v4, v[52:55] offset:4992
	ds_store_b128 v4, v[0:3] offset:5200
.LBB0_9:
	s_wait_alu 0xfffe
	s_or_b32 exec_lo, exec_lo, s0
	global_wb scope:SCOPE_SE
	s_wait_dscnt 0x0
	s_barrier_signal -1
	s_barrier_wait -1
	global_inv scope:SCOPE_SE
	ds_load_b128 v[0:3], v184 offset:416
	ds_load_b128 v[72:75], v184 offset:4992
	;; [unrolled: 1-line block ×4, first 2 shown]
	ds_load_b128 v[52:55], v184
	ds_load_b128 v[84:87], v184 offset:1248
	ds_load_b128 v[88:91], v184 offset:4160
	;; [unrolled: 1-line block ×8, first 2 shown]
	s_mov_b32 s12, 0x4267c47c
	s_mov_b32 s10, 0x42a4c3d2
	;; [unrolled: 1-line block ×13, first 2 shown]
	s_wait_dscnt 0xc
	v_mul_f64_e32 v[4:5], v[70:71], v[2:3]
	v_mul_f64_e32 v[6:7], v[70:71], v[0:1]
	s_wait_dscnt 0xb
	v_mul_f64_e32 v[8:9], v[130:131], v[72:73]
	s_wait_dscnt 0xa
	;; [unrolled: 2-line block ×3, first 2 shown]
	v_mul_f64_e32 v[12:13], v[126:127], v[80:81]
	v_mul_f64_e32 v[14:15], v[62:63], v[78:79]
	s_wait_dscnt 0x7
	v_mul_f64_e32 v[16:17], v[58:59], v[84:85]
	s_wait_dscnt 0x6
	v_mul_f64_e32 v[18:19], v[122:123], v[88:89]
	v_mul_f64_e32 v[20:21], v[58:59], v[86:87]
	v_mul_f64_e32 v[22:23], v[130:131], v[74:75]
	v_mul_f64_e32 v[126:127], v[126:127], v[82:83]
	s_wait_dscnt 0x5
	v_mul_f64_e32 v[70:71], v[66:67], v[94:95]
	v_mul_f64_e32 v[66:67], v[66:67], v[92:93]
	s_wait_dscnt 0x2
	v_mul_f64_e32 v[130:131], v[118:119], v[138:139]
	v_mul_f64_e32 v[118:119], v[118:119], v[136:137]
	;; [unrolled: 1-line block ×3, first 2 shown]
	s_mov_b32 s28, 0xb2365da1
	s_mov_b32 s27, 0xbfedeba7
	s_mov_b32 s29, 0xbfd6b1d8
	s_mov_b32 s24, 0x24c2f84
	s_mov_b32 s36, 0xd0032e0c
	s_mov_b32 s25, 0xbfe5384d
	s_mov_b32 s37, 0xbfe7f3cc
	s_mov_b32 s40, 0x4bc48dbf
	s_mov_b32 s42, 0x93053d00
	s_mov_b32 s41, 0xbfcea1e5
	s_mov_b32 s43, 0xbfef11f4
	s_mov_b32 s9, 0x3fea55e2
	s_wait_alu 0xfffe
	s_mov_b32 s8, s10
	s_mov_b32 s1, 0x3fddbe06
	;; [unrolled: 1-line block ×10, first 2 shown]
	v_fma_f64 v[4:5], v[68:69], v[0:1], v[4:5]
	v_fma_f64 v[6:7], v[68:69], v[2:3], -v[6:7]
	v_fma_f64 v[58:59], v[128:129], v[74:75], -v[8:9]
	;; [unrolled: 1-line block ×4, first 2 shown]
	v_mul_f64_e32 v[10:11], v[106:107], v[98:99]
	v_mul_f64_e32 v[12:13], v[106:107], v[96:97]
	v_fma_f64 v[16:17], v[56:57], v[86:87], -v[16:17]
	v_fma_f64 v[62:63], v[120:121], v[90:91], -v[18:19]
	v_fma_f64 v[14:15], v[60:61], v[76:77], v[14:15]
	v_fma_f64 v[0:1], v[128:129], v[72:73], v[22:23]
	;; [unrolled: 1-line block ×5, first 2 shown]
	v_fma_f64 v[22:23], v[64:65], v[94:95], -v[66:67]
	s_wait_dscnt 0x0
	v_mul_f64_e32 v[78:79], v[114:115], v[146:147]
	v_mul_f64_e32 v[82:83], v[114:115], v[144:145]
	;; [unrolled: 1-line block ×5, first 2 shown]
	v_fma_f64 v[66:67], v[116:117], v[136:137], v[130:131]
	v_fma_f64 v[64:65], v[116:117], v[138:139], -v[118:119]
	v_mul_f64_e32 v[106:107], v[110:111], v[132:133]
	v_fma_f64 v[60:61], v[120:121], v[88:89], v[122:123]
	v_add_f64_e32 v[72:73], v[52:53], v[4:5]
	v_add_f64_e32 v[76:77], v[54:55], v[6:7]
	v_add_f64_e64 v[80:81], v[6:7], -v[58:59]
	v_add_f64_e32 v[6:7], v[6:7], v[58:59]
	v_add_f64_e64 v[84:85], v[8:9], -v[2:3]
	v_fma_f64 v[10:11], v[104:105], v[96:97], v[10:11]
	v_fma_f64 v[12:13], v[104:105], v[98:99], -v[12:13]
	v_add_f64_e32 v[86:87], v[8:9], v[2:3]
	v_add_f64_e64 v[90:91], v[16:17], -v[62:63]
	v_add_f64_e32 v[92:93], v[16:17], v[62:63]
	v_add_f64_e32 v[94:95], v[4:5], v[0:1]
	v_add_f64_e64 v[4:5], v[4:5], -v[0:1]
	v_add_f64_e32 v[96:97], v[14:15], v[56:57]
	v_add_f64_e64 v[98:99], v[14:15], -v[56:57]
	v_fma_f64 v[78:79], v[112:113], v[144:145], v[78:79]
	v_fma_f64 v[82:83], v[112:113], v[146:147], -v[82:83]
	v_fma_f64 v[88:89], v[100:101], v[140:141], v[68:69]
	v_fma_f64 v[74:75], v[100:101], v[142:143], -v[74:75]
	v_fma_f64 v[70:71], v[108:109], v[132:133], v[102:103]
	v_add_f64_e32 v[104:105], v[20:21], v[66:67]
	v_add_f64_e64 v[110:111], v[22:23], -v[64:65]
	v_fma_f64 v[68:69], v[108:109], v[134:135], -v[106:107]
	v_add_f64_e32 v[100:101], v[18:19], v[60:61]
	v_add_f64_e64 v[102:103], v[18:19], -v[60:61]
	v_add_f64_e32 v[106:107], v[22:23], v[64:65]
	v_add_f64_e64 v[108:109], v[20:21], -v[66:67]
	v_add_f64_e32 v[14:15], v[72:73], v[14:15]
	v_add_f64_e32 v[8:9], v[76:77], v[8:9]
	v_mul_f64_e32 v[72:73], s[12:13], v[80:81]
	v_mul_f64_e32 v[112:113], s[10:11], v[80:81]
	;; [unrolled: 1-line block ×18, first 2 shown]
	s_wait_alu 0xfffe
	v_mul_f64_e32 v[140:141], s[38:39], v[84:85]
	v_mul_f64_e32 v[142:143], s[36:37], v[86:87]
	;; [unrolled: 1-line block ×18, first 2 shown]
	v_add_f64_e32 v[14:15], v[14:15], v[18:19]
	v_add_f64_e32 v[8:9], v[8:9], v[16:17]
	v_fma_f64 v[16:17], v[94:95], s[14:15], v[72:73]
	v_fma_f64 v[72:73], v[94:95], s[14:15], -v[72:73]
	v_fma_f64 v[189:190], v[94:95], s[16:17], v[112:113]
	v_fma_f64 v[112:113], v[94:95], s[16:17], -v[112:113]
	v_fma_f64 v[193:194], v[94:95], s[20:21], v[116:117]
	v_fma_f64 v[191:192], v[4:5], s[8:9], v[114:115]
	;; [unrolled: 1-line block ×6, first 2 shown]
	v_fma_f64 v[116:117], v[94:95], s[20:21], -v[116:117]
	v_fma_f64 v[118:119], v[4:5], s[18:19], v[118:119]
	v_fma_f64 v[197:198], v[94:95], s[28:29], v[120:121]
	;; [unrolled: 1-line block ×3, first 2 shown]
	v_fma_f64 v[120:121], v[94:95], s[28:29], -v[120:121]
	v_fma_f64 v[122:123], v[4:5], s[26:27], v[122:123]
	v_fma_f64 v[201:202], v[94:95], s[36:37], v[124:125]
	;; [unrolled: 1-line block ×7, first 2 shown]
	v_fma_f64 v[124:125], v[94:95], s[36:37], -v[124:125]
	v_fma_f64 v[80:81], v[94:95], s[42:43], -v[80:81]
	v_fma_f64 v[6:7], v[96:97], s[16:17], v[128:129]
	v_fma_f64 v[128:129], v[96:97], s[16:17], -v[128:129]
	v_fma_f64 v[209:210], v[96:97], s[28:29], v[132:133]
	;; [unrolled: 2-line block ×3, first 2 shown]
	v_fma_f64 v[211:212], v[98:99], s[30:31], v[134:135]
	v_fma_f64 v[94:95], v[98:99], s[8:9], v[130:131]
	;; [unrolled: 1-line block ×5, first 2 shown]
	v_fma_f64 v[136:137], v[96:97], s[42:43], -v[136:137]
	v_fma_f64 v[138:139], v[98:99], s[40:41], v[138:139]
	v_add_f64_e32 v[14:15], v[14:15], v[20:21]
	v_add_f64_e32 v[8:9], v[8:9], v[22:23]
	;; [unrolled: 1-line block ×11, first 2 shown]
	v_fma_f64 v[217:218], v[96:97], s[36:37], v[140:141]
	v_fma_f64 v[219:220], v[98:99], s[24:25], v[142:143]
	v_add_f64_e32 v[76:77], v[54:55], v[76:77]
	v_add_f64_e32 v[116:117], v[52:53], v[116:117]
	;; [unrolled: 1-line block ×5, first 2 shown]
	v_fma_f64 v[20:21], v[96:97], s[36:37], -v[140:141]
	v_fma_f64 v[22:23], v[98:99], s[38:39], v[142:143]
	v_fma_f64 v[140:141], v[96:97], s[20:21], v[144:145]
	;; [unrolled: 1-line block ×3, first 2 shown]
	v_add_f64_e32 v[120:121], v[52:53], v[120:121]
	v_add_f64_e32 v[122:123], v[54:55], v[122:123]
	;; [unrolled: 1-line block ×4, first 2 shown]
	v_fma_f64 v[221:222], v[96:97], s[14:15], v[84:85]
	v_fma_f64 v[223:224], v[98:99], s[12:13], v[86:87]
	;; [unrolled: 1-line block ×3, first 2 shown]
	v_add_f64_e32 v[205:206], v[52:53], v[205:206]
	v_add_f64_e32 v[207:208], v[54:55], v[207:208]
	;; [unrolled: 1-line block ×3, first 2 shown]
	v_fma_f64 v[84:85], v[96:97], s[14:15], -v[84:85]
	v_add_f64_e32 v[124:125], v[52:53], v[124:125]
	v_add_f64_e32 v[52:53], v[52:53], v[80:81]
	v_fma_f64 v[144:145], v[96:97], s[20:21], -v[144:145]
	v_fma_f64 v[146:147], v[98:99], s[22:23], v[146:147]
	v_add_f64_e32 v[126:127], v[54:55], v[126:127]
	v_add_f64_e32 v[14:15], v[14:15], v[10:11]
	;; [unrolled: 1-line block ×3, first 2 shown]
	v_mul_f64_e32 v[168:169], s[26:27], v[110:111]
	v_mul_f64_e32 v[170:171], s[28:29], v[106:107]
	;; [unrolled: 1-line block ×12, first 2 shown]
	v_fma_f64 v[96:97], v[100:101], s[20:21], v[148:149]
	v_fma_f64 v[148:149], v[100:101], s[20:21], -v[148:149]
	v_fma_f64 v[54:55], v[100:101], s[42:43], v[152:153]
	v_add_f64_e32 v[72:73], v[128:129], v[72:73]
	v_add_f64_e32 v[189:190], v[209:210], v[189:190]
	;; [unrolled: 1-line block ×4, first 2 shown]
	v_add_f64_e64 v[193:194], v[12:13], -v[68:69]
	v_add_f64_e32 v[12:13], v[12:13], v[68:69]
	v_fma_f64 v[80:81], v[102:103], s[34:35], v[154:155]
	v_add_f64_e32 v[191:192], v[211:212], v[191:192]
	v_fma_f64 v[152:153], v[100:101], s[42:43], -v[152:153]
	v_add_f64_e32 v[6:7], v[6:7], v[16:17]
	v_fma_f64 v[16:17], v[100:101], s[28:29], v[156:157]
	v_add_f64_e32 v[18:19], v[94:95], v[18:19]
	v_fma_f64 v[94:95], v[102:103], s[26:27], v[158:159]
	v_add_f64_e32 v[114:115], v[134:135], v[114:115]
	v_add_f64_e32 v[134:135], v[215:216], v[195:196]
	v_fma_f64 v[98:99], v[102:103], s[22:23], v[150:151]
	v_fma_f64 v[150:151], v[102:103], s[18:19], v[150:151]
	;; [unrolled: 1-line block ×3, first 2 shown]
	v_add_f64_e32 v[76:77], v[130:131], v[76:77]
	v_fma_f64 v[130:131], v[102:103], s[12:13], v[162:163]
	v_add_f64_e32 v[116:117], v[136:137], v[116:117]
	v_add_f64_e32 v[14:15], v[14:15], v[88:89]
	;; [unrolled: 1-line block ×6, first 2 shown]
	v_fma_f64 v[154:155], v[102:103], s[40:41], v[154:155]
	v_fma_f64 v[158:159], v[102:103], s[30:31], v[158:159]
	;; [unrolled: 1-line block ×4, first 2 shown]
	v_add_f64_e32 v[20:21], v[20:21], v[120:121]
	v_add_f64_e32 v[22:23], v[22:23], v[122:123]
	;; [unrolled: 1-line block ×4, first 2 shown]
	v_fma_f64 v[160:161], v[100:101], s[14:15], -v[160:161]
	v_fma_f64 v[140:141], v[100:101], s[36:37], v[90:91]
	v_fma_f64 v[142:143], v[102:103], s[38:39], v[92:93]
	;; [unrolled: 1-line block ×3, first 2 shown]
	v_add_f64_e32 v[205:206], v[221:222], v[205:206]
	v_add_f64_e32 v[207:208], v[223:224], v[207:208]
	;; [unrolled: 1-line block ×3, first 2 shown]
	v_fma_f64 v[90:91], v[100:101], s[36:37], -v[90:91]
	v_add_f64_e32 v[52:53], v[84:85], v[52:53]
	v_fma_f64 v[156:157], v[100:101], s[28:29], -v[156:157]
	v_fma_f64 v[164:165], v[100:101], s[16:17], -v[164:165]
	v_fma_f64 v[166:167], v[102:103], s[10:11], v[166:167]
	v_add_f64_e32 v[124:125], v[144:145], v[124:125]
	v_add_f64_e32 v[126:127], v[146:147], v[126:127]
	v_fma_f64 v[162:163], v[102:103], s[0:1], v[162:163]
	v_fma_f64 v[100:101], v[104:105], s[28:29], v[168:169]
	;; [unrolled: 1-line block ×3, first 2 shown]
	v_fma_f64 v[168:169], v[104:105], s[28:29], -v[168:169]
	v_fma_f64 v[170:171], v[108:109], s[26:27], v[170:171]
	v_fma_f64 v[195:196], v[104:105], s[36:37], v[172:173]
	;; [unrolled: 1-line block ×3, first 2 shown]
	v_fma_f64 v[172:173], v[104:105], s[36:37], -v[172:173]
	v_fma_f64 v[174:175], v[108:109], s[38:39], v[174:175]
	v_fma_f64 v[199:200], v[104:105], s[14:15], v[176:177]
	v_fma_f64 v[201:202], v[108:109], s[12:13], v[178:179]
	v_add_f64_e32 v[14:15], v[14:15], v[78:79]
	v_add_f64_e32 v[8:9], v[8:9], v[82:83]
	v_fma_f64 v[176:177], v[104:105], s[14:15], -v[176:177]
	v_fma_f64 v[178:179], v[108:109], s[0:1], v[178:179]
	v_fma_f64 v[203:204], v[104:105], s[20:21], v[180:181]
	;; [unrolled: 1-line block ×3, first 2 shown]
	v_fma_f64 v[180:181], v[104:105], s[20:21], -v[180:181]
	v_fma_f64 v[182:183], v[108:109], s[18:19], v[182:183]
	v_fma_f64 v[215:216], v[104:105], s[42:43], v[185:186]
	;; [unrolled: 1-line block ×3, first 2 shown]
	v_fma_f64 v[185:186], v[104:105], s[42:43], -v[185:186]
	v_fma_f64 v[187:188], v[108:109], s[34:35], v[187:188]
	v_fma_f64 v[219:220], v[104:105], s[16:17], v[110:111]
	v_fma_f64 v[104:105], v[104:105], s[16:17], -v[110:111]
	v_fma_f64 v[110:111], v[108:109], s[10:11], v[106:107]
	v_fma_f64 v[106:107], v[108:109], s[8:9], v[106:107]
	v_add_f64_e64 v[108:109], v[74:75], -v[82:83]
	v_add_f64_e32 v[74:75], v[74:75], v[82:83]
	v_add_f64_e32 v[144:145], v[88:89], v[78:79]
	v_add_f64_e64 v[88:89], v[88:89], -v[78:79]
	v_add_f64_e32 v[78:79], v[10:11], v[70:71]
	v_add_f64_e64 v[10:11], v[10:11], -v[70:71]
	v_mul_f64_e32 v[82:83], s[36:37], v[12:13]
	v_mul_f64_e32 v[223:224], s[20:21], v[12:13]
	;; [unrolled: 1-line block ×3, first 2 shown]
	v_add_f64_e32 v[72:73], v[148:149], v[72:73]
	v_mul_f64_e32 v[148:149], s[42:43], v[12:13]
	v_add_f64_e32 v[54:55], v[54:55], v[189:190]
	v_mul_f64_e32 v[189:190], s[14:15], v[12:13]
	v_mul_f64_e32 v[12:13], s[28:29], v[12:13]
	;; [unrolled: 1-line block ×4, first 2 shown]
	v_add_f64_e32 v[80:81], v[80:81], v[191:192]
	v_mul_f64_e32 v[84:85], s[10:11], v[193:194]
	v_add_f64_e32 v[112:113], v[152:153], v[112:113]
	v_add_f64_e32 v[16:17], v[16:17], v[132:133]
	;; [unrolled: 1-line block ×6, first 2 shown]
	v_mul_f64_e32 v[96:97], s[34:35], v[193:194]
	v_add_f64_e32 v[76:77], v[150:151], v[76:77]
	v_add_f64_e32 v[128:129], v[128:129], v[136:137]
	;; [unrolled: 1-line block ×3, first 2 shown]
	v_mul_f64_e32 v[150:151], s[0:1], v[193:194]
	v_add_f64_e32 v[114:115], v[154:155], v[114:115]
	v_add_f64_e32 v[118:119], v[158:159], v[118:119]
	;; [unrolled: 1-line block ×4, first 2 shown]
	v_mul_f64_e32 v[193:194], s[26:27], v[193:194]
	v_add_f64_e32 v[20:21], v[160:161], v[20:21]
	v_add_f64_e32 v[140:141], v[140:141], v[205:206]
	;; [unrolled: 1-line block ×9, first 2 shown]
	v_mul_f64_e32 v[191:192], s[40:41], v[108:109]
	v_fma_f64 v[160:161], v[10:11], s[38:39], v[82:83]
	v_fma_f64 v[82:83], v[10:11], s[24:25], v[82:83]
	;; [unrolled: 1-line block ×12, first 2 shown]
	v_add_f64_e32 v[12:13], v[98:99], v[18:19]
	v_mul_f64_e32 v[154:155], s[0:1], v[108:109]
	v_mul_f64_e32 v[132:133], s[14:15], v[74:75]
	;; [unrolled: 1-line block ×3, first 2 shown]
	v_add_f64_e32 v[14:15], v[14:15], v[66:67]
	v_add_f64_e32 v[8:9], v[8:9], v[64:65]
	v_mul_f64_e32 v[68:69], s[28:29], v[74:75]
	v_fma_f64 v[138:139], v[78:79], s[36:37], v[146:147]
	v_fma_f64 v[146:147], v[78:79], s[36:37], -v[146:147]
	v_fma_f64 v[162:163], v[78:79], s[20:21], v[221:222]
	v_add_f64_e32 v[72:73], v[168:169], v[72:73]
	v_add_f64_e32 v[54:55], v[195:196], v[54:55]
	;; [unrolled: 1-line block ×3, first 2 shown]
	v_mul_f64_e32 v[152:153], s[42:43], v[74:75]
	v_mul_f64_e32 v[134:135], s[24:25], v[108:109]
	;; [unrolled: 1-line block ×7, first 2 shown]
	v_fma_f64 v[221:222], v[78:79], s[20:21], -v[221:222]
	v_fma_f64 v[211:212], v[78:79], s[16:17], v[84:85]
	v_add_f64_e32 v[112:113], v[172:173], v[112:113]
	v_add_f64_e32 v[16:17], v[199:200], v[16:17]
	v_add_f64_e32 v[94:95], v[201:202], v[94:95]
	v_fma_f64 v[166:167], v[78:79], s[42:43], v[96:97]
	v_add_f64_e32 v[76:77], v[170:171], v[76:77]
	v_add_f64_e32 v[128:129], v[203:204], v[128:129]
	v_add_f64_e32 v[130:131], v[213:214], v[130:131]
	;; [unrolled: 4-line block ×3, first 2 shown]
	v_add_f64_e32 v[122:123], v[217:218], v[122:123]
	v_fma_f64 v[96:97], v[78:79], s[42:43], -v[96:97]
	v_fma_f64 v[66:67], v[78:79], s[28:29], v[193:194]
	v_add_f64_e32 v[20:21], v[180:181], v[20:21]
	v_add_f64_e32 v[140:141], v[219:220], v[140:141]
	v_add_f64_e32 v[110:111], v[110:111], v[142:143]
	v_add_f64_e32 v[4:5], v[106:107], v[4:5]
	v_fma_f64 v[84:85], v[78:79], s[16:17], -v[84:85]
	v_fma_f64 v[150:151], v[78:79], s[14:15], -v[150:151]
	;; [unrolled: 1-line block ×3, first 2 shown]
	v_add_f64_e32 v[52:53], v[104:105], v[52:53]
	v_add_f64_e32 v[116:117], v[176:177], v[116:117]
	;; [unrolled: 1-line block ×9, first 2 shown]
	v_fma_f64 v[18:19], v[144:145], s[42:43], v[191:192]
	v_fma_f64 v[64:65], v[144:145], s[42:43], -v[191:192]
	v_fma_f64 v[191:192], v[144:145], s[14:15], v[154:155]
	v_fma_f64 v[193:194], v[88:89], s[12:13], v[132:133]
	;; [unrolled: 1-line block ×3, first 2 shown]
	v_fma_f64 v[142:143], v[144:145], s[16:17], -v[158:159]
	v_fma_f64 v[158:159], v[88:89], s[30:31], v[68:69]
	v_fma_f64 v[170:171], v[88:89], s[26:27], v[68:69]
	v_add_f64_e32 v[60:61], v[146:147], v[72:73]
	v_add_f64_e32 v[54:55], v[162:163], v[54:55]
	;; [unrolled: 1-line block ×3, first 2 shown]
	v_fma_f64 v[154:155], v[144:145], s[14:15], -v[154:155]
	v_fma_f64 v[100:101], v[144:145], s[36:37], v[134:135]
	v_fma_f64 v[168:169], v[88:89], s[38:39], v[156:157]
	v_fma_f64 v[104:105], v[144:145], s[36:37], -v[134:135]
	v_fma_f64 v[102:103], v[144:145], s[28:29], v[136:137]
	v_fma_f64 v[136:137], v[144:145], s[28:29], -v[136:137]
	v_fma_f64 v[172:173], v[144:145], s[20:21], v[108:109]
	v_fma_f64 v[174:175], v[88:89], s[18:19], v[74:75]
	v_fma_f64 v[108:109], v[144:145], s[20:21], -v[108:109]
	v_fma_f64 v[144:145], v[88:89], s[22:23], v[74:75]
	v_add_f64_e32 v[72:73], v[221:222], v[112:113]
	v_add_f64_e32 v[16:17], v[211:212], v[16:17]
	v_add_f64_e32 v[74:75], v[164:165], v[94:95]
	v_fma_f64 v[134:135], v[88:89], s[10:11], v[70:71]
	v_add_f64_e32 v[62:63], v[82:83], v[76:77]
	v_add_f64_e32 v[80:81], v[166:167], v[128:129]
	v_add_f64_e32 v[82:83], v[205:206], v[130:131]
	v_add_f64_e32 v[112:113], v[223:224], v[114:115]
	v_add_f64_e32 v[114:115], v[86:87], v[118:119]
	v_add_f64_e32 v[86:87], v[207:208], v[120:121]
	v_add_f64_e32 v[90:91], v[90:91], v[122:123]
	v_fma_f64 v[98:99], v[88:89], s[40:41], v[152:153]
	v_add_f64_e32 v[20:21], v[96:97], v[20:21]
	v_add_f64_e32 v[96:97], v[66:67], v[140:141]
	v_add_f64_e32 v[110:111], v[92:93], v[110:111]
	v_add_f64_e32 v[4:5], v[10:11], v[4:5]
	v_add_f64_e32 v[78:79], v[78:79], v[52:53]
	v_add_f64_e32 v[76:77], v[84:85], v[116:117]
	v_add_f64_e32 v[94:95], v[150:151], v[124:125]
	v_add_f64_e32 v[116:117], v[189:190], v[126:127]
	v_add_f64_e32 v[22:23], v[148:149], v[22:23]
	v_add_f64_e32 v[10:11], v[14:15], v[56:57]
	v_fma_f64 v[14:15], v[88:89], s[8:9], v[70:71]
	v_fma_f64 v[56:57], v[88:89], s[24:25], v[156:157]
	;; [unrolled: 1-line block ×3, first 2 shown]
	v_add_f64_e32 v[2:3], v[8:9], v[2:3]
	v_add_f64_e32 v[6:7], v[138:139], v[6:7]
	v_fma_f64 v[8:9], v[88:89], s[34:35], v[152:153]
	v_add_f64_e32 v[12:13], v[160:161], v[12:13]
	v_add_f64_e32 v[60:61], v[64:65], v[60:61]
	v_add_f64_e32 v[64:65], v[191:192], v[54:55]
	v_add_f64_e32 v[66:67], v[193:194], v[68:69]
	s_mul_u64 s[0:1], s[4:5], 0x1a0
	v_add_f64_e32 v[68:69], v[154:155], v[72:73]
	v_add_f64_e32 v[72:73], v[100:101], v[16:17]
	;; [unrolled: 1-line block ×12, first 2 shown]
	scratch_load_b64 v[4:5], off, off offset:4 th:TH_LOAD_LU ; 8-byte Folded Reload
	v_add_f64_e32 v[100:101], v[108:109], v[78:79]
	v_add_f64_e32 v[92:93], v[136:137], v[94:95]
	;; [unrolled: 1-line block ×5, first 2 shown]
	scratch_load_b32 v10, off, off offset:44 th:TH_LOAD_LU ; 4-byte Folded Reload
	v_add_f64_e32 v[86:87], v[14:15], v[22:23]
	v_add_f64_e32 v[78:79], v[56:57], v[114:115]
	;; [unrolled: 1-line block ×6, first 2 shown]
	ds_store_b128 v184, v[64:67] offset:832
	ds_store_b128 v184, v[72:75] offset:1248
	;; [unrolled: 1-line block ×11, first 2 shown]
	ds_store_b128 v184, v[0:3]
	ds_store_b128 v184, v[52:55] offset:416
	global_wb scope:SCOPE_SE
	s_wait_loadcnt_dscnt 0x0
	s_barrier_signal -1
	s_barrier_wait -1
	global_inv scope:SCOPE_SE
	ds_load_b128 v[0:3], v184
	ds_load_b128 v[52:55], v184 offset:416
	ds_load_b128 v[56:59], v184 offset:832
	ds_load_b128 v[60:63], v184 offset:1248
	ds_load_b128 v[64:67], v184 offset:1664
	ds_load_b128 v[68:71], v184 offset:2080
	ds_load_b128 v[72:75], v184 offset:2496
	ds_load_b128 v[76:79], v184 offset:2912
	ds_load_b128 v[80:83], v184 offset:3328
	ds_load_b128 v[84:87], v184 offset:3744
	ds_load_b128 v[88:91], v184 offset:4160
	ds_load_b128 v[92:95], v184 offset:4576
	ds_load_b128 v[96:99], v184 offset:4992
	s_clause 0x1
	scratch_load_b128 v[128:131], off, off offset:28 th:TH_LOAD_LU
	scratch_load_b128 v[124:127], off, off offset:12 th:TH_LOAD_LU
	s_wait_dscnt 0x4
	v_mul_f64_e32 v[110:111], v[34:35], v[82:83]
	v_mul_f64_e32 v[34:35], v[34:35], v[80:81]
	s_wait_dscnt 0x3
	v_mul_f64_e32 v[112:113], v[38:39], v[86:87]
	v_mul_f64_e32 v[106:107], v[26:27], v[74:75]
	;; [unrolled: 1-line block ×4, first 2 shown]
	s_wait_dscnt 0x2
	v_mul_f64_e32 v[114:115], v[42:43], v[90:91]
	v_mul_f64_e32 v[42:43], v[42:43], v[88:89]
	s_wait_dscnt 0x1
	v_mul_f64_e32 v[116:117], v[46:47], v[94:95]
	v_mul_f64_e32 v[46:47], v[46:47], v[92:93]
	;; [unrolled: 3-line block ×3, first 2 shown]
	v_fma_f64 v[34:35], v[32:33], v[82:83], -v[34:35]
	v_fma_f64 v[26:27], v[24:25], v[74:75], -v[26:27]
	;; [unrolled: 1-line block ×6, first 2 shown]
	v_mov_b32_e32 v8, v4
	s_delay_alu instid0(VALU_DEP_1) | instskip(SKIP_1) | instid1(VALU_DEP_1)
	v_mad_co_u64_u32 v[4:5], null, s6, v8, 0
	v_mad_co_u64_u32 v[6:7], null, s4, v10, 0
	;; [unrolled: 1-line block ×3, first 2 shown]
	s_delay_alu instid0(VALU_DEP_1) | instskip(NEXT) | instid1(VALU_DEP_3)
	v_mov_b32_e32 v5, v8
	v_mad_co_u64_u32 v[9:10], null, s5, v10, v[7:8]
	s_delay_alu instid0(VALU_DEP_2) | instskip(NEXT) | instid1(VALU_DEP_2)
	v_lshlrev_b64_e32 v[4:5], 4, v[4:5]
	v_mov_b32_e32 v7, v9
	s_delay_alu instid0(VALU_DEP_2) | instskip(SKIP_1) | instid1(VALU_DEP_3)
	v_add_co_u32 v108, vcc_lo, s2, v4
	s_wait_alu 0xfffd
	v_add_co_ci_u32_e32 v109, vcc_lo, s3, v5, vcc_lo
	s_delay_alu instid0(VALU_DEP_3)
	v_lshlrev_b64_e32 v[6:7], 4, v[6:7]
	s_mov_b32 s2, 0x7ab2bedd
	s_mov_b32 s3, 0x3f683c97
	s_wait_alu 0xfffe
	v_mul_f64_e32 v[26:27], s[2:3], v[26:27]
	v_mul_f64_e32 v[34:35], s[2:3], v[34:35]
	v_add_co_u32 v108, vcc_lo, v108, v6
	s_wait_alu 0xfffd
	v_add_co_ci_u32_e32 v109, vcc_lo, v109, v7, vcc_lo
	s_wait_loadcnt 0x1
	v_mul_f64_e32 v[4:5], v[130:131], v[2:3]
	v_mul_f64_e32 v[8:9], v[130:131], v[0:1]
	scratch_load_b128 v[130:133], off, off offset:48 th:TH_LOAD_LU ; 16-byte Folded Reload
	s_wait_loadcnt 0x1
	v_mul_f64_e32 v[10:11], v[126:127], v[54:55]
	v_mul_f64_e32 v[12:13], v[126:127], v[52:53]
	;; [unrolled: 1-line block ×4, first 2 shown]
	v_add_co_u32 v120, vcc_lo, v108, s0
	s_wait_alu 0xfffd
	v_add_co_ci_u32_e32 v121, vcc_lo, s1, v109, vcc_lo
	v_mul_f64_e32 v[38:39], s[2:3], v[38:39]
	s_delay_alu instid0(VALU_DEP_3) | instskip(SKIP_1) | instid1(VALU_DEP_3)
	v_add_co_u32 v122, vcc_lo, v120, s0
	s_wait_alu 0xfffd
	v_add_co_ci_u32_e32 v123, vcc_lo, s1, v121, vcc_lo
	v_mul_f64_e32 v[42:43], s[2:3], v[42:43]
	v_mul_f64_e32 v[46:47], s[2:3], v[46:47]
	;; [unrolled: 1-line block ×3, first 2 shown]
	v_fma_f64 v[0:1], v[128:129], v[0:1], v[4:5]
	v_fma_f64 v[2:3], v[128:129], v[2:3], -v[8:9]
	v_fma_f64 v[4:5], v[124:125], v[52:53], v[10:11]
	v_fma_f64 v[8:9], v[124:125], v[54:55], -v[12:13]
	;; [unrolled: 2-line block ×3, first 2 shown]
	v_mul_f64_e32 v[0:1], s[2:3], v[0:1]
	v_mul_f64_e32 v[2:3], s[2:3], v[2:3]
	;; [unrolled: 1-line block ×5, first 2 shown]
	s_wait_loadcnt 0x0
	v_mul_f64_e32 v[14:15], v[132:133], v[58:59]
	v_mul_f64_e32 v[16:17], v[132:133], v[56:57]
	scratch_load_b128 v[132:135], off, off offset:64 th:TH_LOAD_LU ; 16-byte Folded Reload
	v_fma_f64 v[10:11], v[130:131], v[56:57], v[14:15]
	v_fma_f64 v[12:13], v[130:131], v[58:59], -v[16:17]
	v_fma_f64 v[58:59], v[28:29], v[76:77], v[6:7]
	v_mul_f64_e32 v[6:7], s[2:3], v[8:9]
	v_add_co_u32 v56, vcc_lo, v122, s0
	s_wait_alu 0xfffd
	v_add_co_ci_u32_e32 v57, vcc_lo, s1, v123, vcc_lo
	v_mul_f64_e32 v[8:9], s[2:3], v[10:11]
	v_mul_f64_e32 v[10:11], s[2:3], v[12:13]
	;; [unrolled: 1-line block ×3, first 2 shown]
	s_wait_loadcnt 0x0
	v_mul_f64_e32 v[18:19], v[134:135], v[62:63]
	v_mul_f64_e32 v[20:21], v[134:135], v[60:61]
	scratch_load_b128 v[134:137], off, off offset:80 th:TH_LOAD_LU ; 16-byte Folded Reload
	v_fma_f64 v[14:15], v[132:133], v[60:61], v[18:19]
	v_fma_f64 v[16:17], v[132:133], v[62:63], -v[20:21]
	v_fma_f64 v[60:61], v[32:33], v[80:81], v[110:111]
	v_fma_f64 v[62:63], v[36:37], v[84:85], v[112:113]
	s_delay_alu instid0(VALU_DEP_4) | instskip(NEXT) | instid1(VALU_DEP_4)
	v_mul_f64_e32 v[12:13], s[2:3], v[14:15]
	v_mul_f64_e32 v[14:15], s[2:3], v[16:17]
	s_delay_alu instid0(VALU_DEP_4) | instskip(NEXT) | instid1(VALU_DEP_4)
	v_mul_f64_e32 v[32:33], s[2:3], v[60:61]
	v_mul_f64_e32 v[36:37], s[2:3], v[62:63]
	s_wait_loadcnt 0x0
	v_mul_f64_e32 v[22:23], v[136:137], v[66:67]
	v_mul_f64_e32 v[100:101], v[136:137], v[64:65]
	scratch_load_b128 v[136:139], off, off offset:96 th:TH_LOAD_LU ; 16-byte Folded Reload
	v_fma_f64 v[18:19], v[134:135], v[64:65], v[22:23]
	v_fma_f64 v[20:21], v[134:135], v[66:67], -v[100:101]
	v_fma_f64 v[64:65], v[40:41], v[88:89], v[114:115]
	v_fma_f64 v[66:67], v[44:45], v[92:93], v[116:117]
	s_delay_alu instid0(VALU_DEP_4) | instskip(NEXT) | instid1(VALU_DEP_4)
	v_mul_f64_e32 v[16:17], s[2:3], v[18:19]
	v_mul_f64_e32 v[18:19], s[2:3], v[20:21]
	s_delay_alu instid0(VALU_DEP_4) | instskip(NEXT) | instid1(VALU_DEP_4)
	v_mul_f64_e32 v[40:41], s[2:3], v[64:65]
	v_mul_f64_e32 v[44:45], s[2:3], v[66:67]
	s_wait_loadcnt 0x0
	v_mul_f64_e32 v[102:103], v[138:139], v[70:71]
	v_mul_f64_e32 v[104:105], v[138:139], v[68:69]
	s_delay_alu instid0(VALU_DEP_2) | instskip(NEXT) | instid1(VALU_DEP_2)
	v_fma_f64 v[22:23], v[136:137], v[68:69], v[102:103]
	v_fma_f64 v[52:53], v[136:137], v[70:71], -v[104:105]
	v_fma_f64 v[68:69], v[48:49], v[96:97], v[118:119]
	v_add_co_u32 v70, vcc_lo, v56, s0
	s_wait_alu 0xfffd
	v_add_co_ci_u32_e32 v71, vcc_lo, s1, v57, vcc_lo
	s_delay_alu instid0(VALU_DEP_2) | instskip(SKIP_1) | instid1(VALU_DEP_2)
	v_add_co_u32 v72, vcc_lo, v70, s0
	s_wait_alu 0xfffd
	v_add_co_ci_u32_e32 v73, vcc_lo, s1, v71, vcc_lo
	v_mul_f64_e32 v[20:21], s[2:3], v[22:23]
	v_mul_f64_e32 v[22:23], s[2:3], v[52:53]
	;; [unrolled: 1-line block ×3, first 2 shown]
	v_add_co_u32 v52, vcc_lo, v72, s0
	s_wait_alu 0xfffd
	v_add_co_ci_u32_e32 v53, vcc_lo, s1, v73, vcc_lo
	s_clause 0x4
	global_store_b128 v[108:109], v[0:3], off
	global_store_b128 v[120:121], v[4:7], off
	;; [unrolled: 1-line block ×6, first 2 shown]
	v_add_co_u32 v54, vcc_lo, v52, s0
	s_wait_alu 0xfffd
	v_add_co_ci_u32_e32 v55, vcc_lo, s1, v53, vcc_lo
	global_store_b128 v[52:53], v[24:27], off
	v_add_co_u32 v58, vcc_lo, v54, s0
	s_wait_alu 0xfffd
	v_add_co_ci_u32_e32 v59, vcc_lo, s1, v55, vcc_lo
	global_store_b128 v[54:55], v[28:31], off
	v_add_co_u32 v60, vcc_lo, v58, s0
	s_wait_alu 0xfffd
	v_add_co_ci_u32_e32 v61, vcc_lo, s1, v59, vcc_lo
	s_delay_alu instid0(VALU_DEP_2) | instskip(SKIP_1) | instid1(VALU_DEP_2)
	v_add_co_u32 v0, vcc_lo, v60, s0
	s_wait_alu 0xfffd
	v_add_co_ci_u32_e32 v1, vcc_lo, s1, v61, vcc_lo
	s_delay_alu instid0(VALU_DEP_2) | instskip(SKIP_1) | instid1(VALU_DEP_2)
	;; [unrolled: 4-line block ×3, first 2 shown]
	v_add_co_u32 v4, vcc_lo, v2, s0
	s_wait_alu 0xfffd
	v_add_co_ci_u32_e32 v5, vcc_lo, s1, v3, vcc_lo
	global_store_b128 v[58:59], v[32:35], off
	global_store_b128 v[60:61], v[36:39], off
	;; [unrolled: 1-line block ×5, first 2 shown]
.LBB0_10:
	s_nop 0
	s_sendmsg sendmsg(MSG_DEALLOC_VGPRS)
	s_endpgm
	.section	.rodata,"a",@progbits
	.p2align	6, 0x0
	.amdhsa_kernel bluestein_single_fwd_len338_dim1_dp_op_CI_CI
		.amdhsa_group_segment_fixed_size 10816
		.amdhsa_private_segment_fixed_size 204
		.amdhsa_kernarg_size 104
		.amdhsa_user_sgpr_count 2
		.amdhsa_user_sgpr_dispatch_ptr 0
		.amdhsa_user_sgpr_queue_ptr 0
		.amdhsa_user_sgpr_kernarg_segment_ptr 1
		.amdhsa_user_sgpr_dispatch_id 0
		.amdhsa_user_sgpr_private_segment_size 0
		.amdhsa_wavefront_size32 1
		.amdhsa_uses_dynamic_stack 0
		.amdhsa_enable_private_segment 1
		.amdhsa_system_sgpr_workgroup_id_x 1
		.amdhsa_system_sgpr_workgroup_id_y 0
		.amdhsa_system_sgpr_workgroup_id_z 0
		.amdhsa_system_sgpr_workgroup_info 0
		.amdhsa_system_vgpr_workitem_id 0
		.amdhsa_next_free_vgpr 256
		.amdhsa_next_free_sgpr 46
		.amdhsa_reserve_vcc 1
		.amdhsa_float_round_mode_32 0
		.amdhsa_float_round_mode_16_64 0
		.amdhsa_float_denorm_mode_32 3
		.amdhsa_float_denorm_mode_16_64 3
		.amdhsa_fp16_overflow 0
		.amdhsa_workgroup_processor_mode 1
		.amdhsa_memory_ordered 1
		.amdhsa_forward_progress 0
		.amdhsa_round_robin_scheduling 0
		.amdhsa_exception_fp_ieee_invalid_op 0
		.amdhsa_exception_fp_denorm_src 0
		.amdhsa_exception_fp_ieee_div_zero 0
		.amdhsa_exception_fp_ieee_overflow 0
		.amdhsa_exception_fp_ieee_underflow 0
		.amdhsa_exception_fp_ieee_inexact 0
		.amdhsa_exception_int_div_zero 0
	.end_amdhsa_kernel
	.text
.Lfunc_end0:
	.size	bluestein_single_fwd_len338_dim1_dp_op_CI_CI, .Lfunc_end0-bluestein_single_fwd_len338_dim1_dp_op_CI_CI
                                        ; -- End function
	.section	.AMDGPU.csdata,"",@progbits
; Kernel info:
; codeLenInByte = 19016
; NumSgprs: 48
; NumVgprs: 256
; ScratchSize: 204
; MemoryBound: 0
; FloatMode: 240
; IeeeMode: 1
; LDSByteSize: 10816 bytes/workgroup (compile time only)
; SGPRBlocks: 5
; VGPRBlocks: 31
; NumSGPRsForWavesPerEU: 48
; NumVGPRsForWavesPerEU: 256
; Occupancy: 5
; WaveLimiterHint : 1
; COMPUTE_PGM_RSRC2:SCRATCH_EN: 1
; COMPUTE_PGM_RSRC2:USER_SGPR: 2
; COMPUTE_PGM_RSRC2:TRAP_HANDLER: 0
; COMPUTE_PGM_RSRC2:TGID_X_EN: 1
; COMPUTE_PGM_RSRC2:TGID_Y_EN: 0
; COMPUTE_PGM_RSRC2:TGID_Z_EN: 0
; COMPUTE_PGM_RSRC2:TIDIG_COMP_CNT: 0
	.text
	.p2alignl 7, 3214868480
	.fill 96, 4, 3214868480
	.type	__hip_cuid_7a36c773a9f67185,@object ; @__hip_cuid_7a36c773a9f67185
	.section	.bss,"aw",@nobits
	.globl	__hip_cuid_7a36c773a9f67185
__hip_cuid_7a36c773a9f67185:
	.byte	0                               ; 0x0
	.size	__hip_cuid_7a36c773a9f67185, 1

	.ident	"AMD clang version 19.0.0git (https://github.com/RadeonOpenCompute/llvm-project roc-6.4.0 25133 c7fe45cf4b819c5991fe208aaa96edf142730f1d)"
	.section	".note.GNU-stack","",@progbits
	.addrsig
	.addrsig_sym __hip_cuid_7a36c773a9f67185
	.amdgpu_metadata
---
amdhsa.kernels:
  - .args:
      - .actual_access:  read_only
        .address_space:  global
        .offset:         0
        .size:           8
        .value_kind:     global_buffer
      - .actual_access:  read_only
        .address_space:  global
        .offset:         8
        .size:           8
        .value_kind:     global_buffer
      - .actual_access:  read_only
        .address_space:  global
        .offset:         16
        .size:           8
        .value_kind:     global_buffer
      - .actual_access:  read_only
        .address_space:  global
        .offset:         24
        .size:           8
        .value_kind:     global_buffer
      - .actual_access:  read_only
        .address_space:  global
        .offset:         32
        .size:           8
        .value_kind:     global_buffer
      - .offset:         40
        .size:           8
        .value_kind:     by_value
      - .address_space:  global
        .offset:         48
        .size:           8
        .value_kind:     global_buffer
      - .address_space:  global
        .offset:         56
        .size:           8
        .value_kind:     global_buffer
      - .address_space:  global
        .offset:         64
        .size:           8
        .value_kind:     global_buffer
      - .address_space:  global
        .offset:         72
        .size:           8
        .value_kind:     global_buffer
      - .offset:         80
        .size:           4
        .value_kind:     by_value
      - .address_space:  global
        .offset:         88
        .size:           8
        .value_kind:     global_buffer
      - .address_space:  global
        .offset:         96
        .size:           8
        .value_kind:     global_buffer
    .group_segment_fixed_size: 10816
    .kernarg_segment_align: 8
    .kernarg_segment_size: 104
    .language:       OpenCL C
    .language_version:
      - 2
      - 0
    .max_flat_workgroup_size: 52
    .name:           bluestein_single_fwd_len338_dim1_dp_op_CI_CI
    .private_segment_fixed_size: 204
    .sgpr_count:     48
    .sgpr_spill_count: 0
    .symbol:         bluestein_single_fwd_len338_dim1_dp_op_CI_CI.kd
    .uniform_work_group_size: 1
    .uses_dynamic_stack: false
    .vgpr_count:     256
    .vgpr_spill_count: 50
    .wavefront_size: 32
    .workgroup_processor_mode: 1
amdhsa.target:   amdgcn-amd-amdhsa--gfx1201
amdhsa.version:
  - 1
  - 2
...

	.end_amdgpu_metadata
